;; amdgpu-corpus repo=ROCm/rocFFT kind=compiled arch=gfx1201 opt=O3
	.text
	.amdgcn_target "amdgcn-amd-amdhsa--gfx1201"
	.amdhsa_code_object_version 6
	.protected	bluestein_single_back_len1755_dim1_dp_op_CI_CI ; -- Begin function bluestein_single_back_len1755_dim1_dp_op_CI_CI
	.globl	bluestein_single_back_len1755_dim1_dp_op_CI_CI
	.p2align	8
	.type	bluestein_single_back_len1755_dim1_dp_op_CI_CI,@function
bluestein_single_back_len1755_dim1_dp_op_CI_CI: ; @bluestein_single_back_len1755_dim1_dp_op_CI_CI
; %bb.0:
	s_load_b128 s[12:15], s[0:1], 0x28
	v_mul_u32_u24_e32 v1, 0x231, v0
	s_mov_b32 s2, exec_lo
	v_mov_b32_e32 v6, 0
	s_delay_alu instid0(VALU_DEP_2) | instskip(NEXT) | instid1(VALU_DEP_1)
	v_lshrrev_b32_e32 v1, 16, v1
	v_add_nc_u32_e32 v5, ttmp9, v1
	s_wait_kmcnt 0x0
	s_delay_alu instid0(VALU_DEP_1)
	v_cmpx_gt_u64_e64 s[12:13], v[5:6]
	s_cbranch_execz .LBB0_15
; %bb.1:
	s_clause 0x1
	s_load_b128 s[4:7], s[0:1], 0x18
	s_load_b64 s[12:13], s[0:1], 0x0
	v_mul_lo_u16 v1, 0x75, v1
	v_mov_b32_e32 v6, v5
	s_delay_alu instid0(VALU_DEP_2)
	v_sub_nc_u16 v2, v0, v1
	scratch_store_b64 off, v[6:7], off offset:344 ; 8-byte Folded Spill
	s_wait_kmcnt 0x0
	s_load_b128 s[8:11], s[4:5], 0x0
	s_wait_kmcnt 0x0
	v_mad_co_u64_u32 v[0:1], null, s10, v5, 0
	s_mul_u64 s[2:3], s[8:9], 0x87
	s_delay_alu instid0(VALU_DEP_1) | instskip(NEXT) | instid1(VALU_DEP_1)
	v_mad_co_u64_u32 v[5:6], null, s11, v5, v[1:2]
	v_dual_mov_b32 v1, v5 :: v_dual_and_b32 v212, 0xffff, v2
	s_delay_alu instid0(VALU_DEP_1)
	v_mad_co_u64_u32 v[3:4], null, s8, v212, 0
	v_lshlrev_b32_e32 v64, 4, v212
	s_clause 0x1
	global_load_b128 v[109:112], v64, s[12:13]
	global_load_b128 v[113:116], v64, s[12:13] offset:2160
	v_mad_co_u64_u32 v[6:7], null, s9, v212, v[4:5]
	v_lshlrev_b64_e32 v[0:1], 4, v[0:1]
	s_clause 0x7
	global_load_b128 v[117:120], v64, s[12:13] offset:4320
	global_load_b128 v[121:124], v64, s[12:13] offset:6480
	;; [unrolled: 1-line block ×8, first 2 shown]
	v_add_co_u32 v0, vcc_lo, s14, v0
	v_mov_b32_e32 v4, v6
	v_add_co_ci_u32_e32 v1, vcc_lo, s15, v1, vcc_lo
	s_lshl_b64 s[14:15], s[2:3], 4
	s_delay_alu instid0(VALU_DEP_2) | instskip(NEXT) | instid1(VALU_DEP_1)
	v_lshlrev_b64_e32 v[3:4], 4, v[3:4]
	v_add_co_u32 v0, vcc_lo, v0, v3
	s_wait_alu 0xfffd
	s_delay_alu instid0(VALU_DEP_2) | instskip(SKIP_1) | instid1(VALU_DEP_2)
	v_add_co_ci_u32_e32 v1, vcc_lo, v1, v4, vcc_lo
	s_wait_alu 0xfffe
	v_add_co_u32 v7, vcc_lo, v0, s14
	s_wait_alu 0xfffd
	s_delay_alu instid0(VALU_DEP_2) | instskip(NEXT) | instid1(VALU_DEP_2)
	v_add_co_ci_u32_e32 v8, vcc_lo, s15, v1, vcc_lo
	v_add_co_u32 v11, vcc_lo, v7, s14
	s_wait_alu 0xfffd
	s_delay_alu instid0(VALU_DEP_2)
	v_add_co_ci_u32_e32 v12, vcc_lo, s15, v8, vcc_lo
	s_clause 0x1
	global_load_b128 v[3:6], v[0:1], off
	global_load_b128 v[7:10], v[7:8], off
	v_add_co_u32 v15, vcc_lo, v11, s14
	s_wait_alu 0xfffd
	v_add_co_ci_u32_e32 v16, vcc_lo, s15, v12, vcc_lo
	s_delay_alu instid0(VALU_DEP_2) | instskip(SKIP_1) | instid1(VALU_DEP_2)
	v_add_co_u32 v0, vcc_lo, v15, s14
	s_wait_alu 0xfffd
	v_add_co_ci_u32_e32 v1, vcc_lo, s15, v16, vcc_lo
	s_clause 0x1
	global_load_b128 v[11:14], v[11:12], off
	global_load_b128 v[15:18], v[15:16], off
	v_add_co_u32 v23, vcc_lo, v0, s14
	s_wait_alu 0xfffd
	v_add_co_ci_u32_e32 v24, vcc_lo, s15, v1, vcc_lo
	global_load_b128 v[19:22], v[0:1], off
	v_add_co_u32 v0, vcc_lo, v23, s14
	s_wait_alu 0xfffd
	v_add_co_ci_u32_e32 v1, vcc_lo, s15, v24, vcc_lo
	;; [unrolled: 4-line block ×8, first 2 shown]
	s_clause 0x1
	global_load_b128 v[153:156], v64, s[12:13] offset:21600
	global_load_b128 v[149:152], v64, s[12:13] offset:23760
	global_load_b128 v[47:50], v[47:48], off
	global_load_b128 v[157:160], v64, s[12:13] offset:25920
	global_load_b128 v[51:54], v[0:1], off
	v_cmp_gt_u16_e32 vcc_lo, 18, v2
	s_wait_loadcnt 0x19
	scratch_store_b128 off, v[109:112], off offset:184 ; 16-byte Folded Spill
	s_wait_loadcnt 0x18
	scratch_store_b128 off, v[113:116], off offset:200 ; 16-byte Folded Spill
	;; [unrolled: 2-line block ×10, first 2 shown]
	s_wait_loadcnt 0xf
	v_mul_f64_e32 v[55:56], v[5:6], v[111:112]
	v_mul_f64_e32 v[57:58], v[3:4], v[111:112]
	s_wait_loadcnt 0xe
	v_mul_f64_e32 v[59:60], v[9:10], v[115:116]
	v_mul_f64_e32 v[61:62], v[7:8], v[115:116]
	;; [unrolled: 3-line block ×9, first 2 shown]
	v_fma_f64 v[3:4], v[3:4], v[109:110], v[55:56]
	v_fma_f64 v[5:6], v[5:6], v[109:110], -v[57:58]
	v_fma_f64 v[7:8], v[7:8], v[113:114], v[59:60]
	s_wait_loadcnt 0x6
	v_mul_f64_e32 v[93:94], v[41:42], v[147:148]
	v_mul_f64_e32 v[95:96], v[39:40], v[147:148]
	v_fma_f64 v[9:10], v[9:10], v[113:114], -v[61:62]
	v_add_co_u32 v55, s2, s12, v64
	s_delay_alu instid0(VALU_DEP_1)
	v_add_co_ci_u32_e64 v56, null, s13, 0, s2
	s_wait_loadcnt 0x4
	v_mul_f64_e32 v[97:98], v[45:46], v[155:156]
	v_mul_f64_e32 v[99:100], v[43:44], v[155:156]
	s_wait_loadcnt 0x2
	v_mul_f64_e32 v[101:102], v[49:50], v[151:152]
	v_mul_f64_e32 v[103:104], v[47:48], v[151:152]
	;; [unrolled: 3-line block ×3, first 2 shown]
	v_fma_f64 v[11:12], v[11:12], v[117:118], v[65:66]
	v_fma_f64 v[13:14], v[13:14], v[117:118], -v[67:68]
	v_fma_f64 v[15:16], v[15:16], v[121:122], v[69:70]
	v_fma_f64 v[17:18], v[17:18], v[121:122], -v[71:72]
	;; [unrolled: 2-line block ×4, first 2 shown]
	s_clause 0x1
	scratch_store_b128 off, v[153:156], off offset:372
	scratch_store_b128 off, v[149:152], off offset:356
	v_fma_f64 v[27:28], v[27:28], v[133:134], v[81:82]
	v_fma_f64 v[29:30], v[29:30], v[133:134], -v[83:84]
	scratch_store_b128 off, v[157:160], off offset:388 ; 16-byte Folded Spill
	s_load_b64 s[10:11], s[0:1], 0x38
	s_load_b128 s[4:7], s[6:7], 0x0
	scratch_store_b64 off, v[55:56], off    ; 8-byte Folded Spill
	v_fma_f64 v[31:32], v[31:32], v[137:138], v[85:86]
	v_fma_f64 v[33:34], v[33:34], v[137:138], -v[87:88]
	ds_store_b128 v64, v[3:6]
	ds_store_b128 v64, v[7:10] offset:2160
	ds_store_b128 v64, v[11:14] offset:4320
	;; [unrolled: 1-line block ×7, first 2 shown]
	v_fma_f64 v[35:36], v[35:36], v[141:142], v[89:90]
	v_fma_f64 v[37:38], v[37:38], v[141:142], -v[91:92]
	v_fma_f64 v[39:40], v[39:40], v[145:146], v[93:94]
	v_fma_f64 v[41:42], v[41:42], v[145:146], -v[95:96]
	;; [unrolled: 2-line block ×5, first 2 shown]
	ds_store_b128 v64, v[35:38] offset:17280
	ds_store_b128 v64, v[39:42] offset:19440
	;; [unrolled: 1-line block ×5, first 2 shown]
	s_and_saveexec_b32 s3, vcc_lo
	s_cbranch_execz .LBB0_3
; %bb.2:
	scratch_load_b64 v[97:98], off, off     ; 8-byte Folded Reload
	v_mad_co_u64_u32 v[32:33], null, 0xffffa210, s8, v[0:1]
	s_mul_i32 s2, s9, 0xffffa210
	s_wait_loadcnt 0x0
	s_clause 0x1
	global_load_b128 v[0:3], v[97:98], off offset:1872
	global_load_b128 v[4:7], v[97:98], off offset:4032
	s_wait_alu 0xfffe
	s_sub_co_i32 s2, s2, s8
	s_clause 0x1
	global_load_b128 v[8:11], v[97:98], off offset:6192
	global_load_b128 v[12:15], v[97:98], off offset:8352
	s_wait_alu 0xfffe
	v_add_nc_u32_e32 v33, s2, v33
	v_add_co_u32 v36, s2, v32, s14
	s_clause 0x3
	global_load_b128 v[16:19], v[97:98], off offset:10512
	global_load_b128 v[20:23], v[97:98], off offset:12672
	;; [unrolled: 1-line block ×4, first 2 shown]
	s_wait_alu 0xf1ff
	v_add_co_ci_u32_e64 v37, s2, s15, v33, s2
	v_add_co_u32 v40, s2, v36, s14
	global_load_b128 v[32:35], v[32:33], off
	s_wait_alu 0xf1ff
	v_add_co_ci_u32_e64 v41, s2, s15, v37, s2
	v_add_co_u32 v44, s2, v40, s14
	global_load_b128 v[36:39], v[36:37], off
	;; [unrolled: 4-line block ×5, first 2 shown]
	s_wait_alu 0xf1ff
	v_add_co_ci_u32_e64 v57, s2, s15, v53, s2
	v_add_co_u32 v60, s2, v56, s14
	s_wait_alu 0xf1ff
	s_delay_alu instid0(VALU_DEP_2) | instskip(NEXT) | instid1(VALU_DEP_2)
	v_add_co_ci_u32_e64 v61, s2, s15, v57, s2
	v_add_co_u32 v65, s2, v60, s14
	s_wait_alu 0xf1ff
	s_delay_alu instid0(VALU_DEP_2) | instskip(NEXT) | instid1(VALU_DEP_2)
	;; [unrolled: 4-line block ×3, first 2 shown]
	v_add_co_ci_u32_e64 v74, s2, s15, v66, s2
	v_add_co_u32 v81, s2, v73, s14
	global_load_b128 v[52:55], v[52:53], off
	global_load_b128 v[56:59], v[56:57], off
	;; [unrolled: 1-line block ×5, first 2 shown]
	s_wait_alu 0xf1ff
	v_add_co_ci_u32_e64 v82, s2, s15, v74, s2
	v_add_co_u32 v89, s2, v81, s14
	s_clause 0x1
	global_load_b128 v[73:76], v[97:98], off offset:19152
	global_load_b128 v[77:80], v[97:98], off offset:21312
	s_wait_alu 0xf1ff
	v_add_co_ci_u32_e64 v90, s2, s15, v82, s2
	v_add_co_u32 v101, s2, v89, s14
	global_load_b128 v[81:84], v[81:82], off
	s_wait_alu 0xf1ff
	v_add_co_ci_u32_e64 v102, s2, s15, v90, s2
	global_load_b128 v[85:88], v[97:98], off offset:23472
	global_load_b128 v[89:92], v[89:90], off
	s_clause 0x1
	global_load_b128 v[93:96], v[97:98], off offset:25632
	global_load_b128 v[97:100], v[97:98], off offset:27792
	global_load_b128 v[101:104], v[101:102], off
	s_wait_loadcnt 0x11
	v_mul_f64_e32 v[105:106], v[34:35], v[2:3]
	v_mul_f64_e32 v[2:3], v[32:33], v[2:3]
	s_wait_loadcnt 0x10
	v_mul_f64_e32 v[107:108], v[38:39], v[6:7]
	v_mul_f64_e32 v[6:7], v[36:37], v[6:7]
	;; [unrolled: 3-line block ×8, first 2 shown]
	v_fma_f64 v[30:31], v[32:33], v[0:1], v[105:106]
	v_fma_f64 v[32:33], v[34:35], v[0:1], -v[2:3]
	s_wait_loadcnt 0x7
	v_mul_f64_e32 v[123:124], v[67:68], v[75:76]
	v_mul_f64_e32 v[75:76], v[65:66], v[75:76]
	s_wait_loadcnt 0x6
	v_mul_f64_e32 v[125:126], v[71:72], v[79:80]
	v_mul_f64_e32 v[79:80], v[69:70], v[79:80]
	v_fma_f64 v[0:1], v[36:37], v[4:5], v[107:108]
	v_fma_f64 v[2:3], v[38:39], v[4:5], -v[6:7]
	s_wait_loadcnt 0x4
	v_mul_f64_e32 v[127:128], v[83:84], v[87:88]
	v_mul_f64_e32 v[87:88], v[81:82], v[87:88]
	s_wait_loadcnt 0x2
	v_mul_f64_e32 v[129:130], v[91:92], v[95:96]
	v_mul_f64_e32 v[95:96], v[89:90], v[95:96]
	s_wait_loadcnt 0x0
	v_mul_f64_e32 v[131:132], v[103:104], v[99:100]
	v_mul_f64_e32 v[99:100], v[101:102], v[99:100]
	v_fma_f64 v[4:5], v[40:41], v[8:9], v[109:110]
	v_fma_f64 v[6:7], v[42:43], v[8:9], -v[10:11]
	v_fma_f64 v[8:9], v[44:45], v[12:13], v[111:112]
	v_fma_f64 v[10:11], v[46:47], v[12:13], -v[14:15]
	;; [unrolled: 2-line block ×11, first 2 shown]
	ds_store_b128 v64, v[30:33] offset:1872
	ds_store_b128 v64, v[0:3] offset:4032
	;; [unrolled: 1-line block ×13, first 2 shown]
.LBB0_3:
	s_wait_alu 0xfffe
	s_or_b32 exec_lo, exec_lo, s3
	global_wb scope:SCOPE_SE
	s_wait_storecnt_dscnt 0x0
	s_wait_kmcnt 0x0
	s_barrier_signal -1
	s_barrier_wait -1
	global_inv scope:SCOPE_SE
	ds_load_b128 v[52:55], v64
	ds_load_b128 v[8:11], v64 offset:2160
	ds_load_b128 v[12:15], v64 offset:4320
	;; [unrolled: 1-line block ×12, first 2 shown]
	s_load_b64 s[0:1], s[0:1], 0x8
                                        ; implicit-def: $vgpr0_vgpr1
                                        ; implicit-def: $vgpr4_vgpr5
                                        ; implicit-def: $vgpr84_vgpr85
                                        ; implicit-def: $vgpr88_vgpr89
                                        ; implicit-def: $vgpr92_vgpr93
                                        ; implicit-def: $vgpr108_vgpr109
                                        ; implicit-def: $vgpr112_vgpr113
                                        ; implicit-def: $vgpr116_vgpr117
                                        ; implicit-def: $vgpr120_vgpr121
                                        ; implicit-def: $vgpr124_vgpr125
                                        ; implicit-def: $vgpr128_vgpr129
                                        ; implicit-def: $vgpr132_vgpr133
                                        ; implicit-def: $vgpr136_vgpr137
	s_and_saveexec_b32 s2, vcc_lo
	s_cbranch_execz .LBB0_5
; %bb.4:
	ds_load_b128 v[0:3], v64 offset:1872
	ds_load_b128 v[4:7], v64 offset:4032
	;; [unrolled: 1-line block ×13, first 2 shown]
.LBB0_5:
	s_wait_alu 0xfffe
	s_or_b32 exec_lo, exec_lo, s2
	s_wait_dscnt 0xb
	v_add_f64_e32 v[48:49], v[52:53], v[8:9]
	v_add_f64_e32 v[50:51], v[54:55], v[10:11]
	s_wait_dscnt 0x5
	v_add_f64_e64 v[67:68], v[44:45], -v[40:41]
	v_add_f64_e64 v[69:70], v[46:47], -v[42:43]
	s_wait_dscnt 0x4
	v_add_f64_e64 v[73:74], v[38:39], -v[34:35]
	s_wait_dscnt 0x3
	v_add_f64_e64 v[75:76], v[28:29], -v[24:25]
	v_add_f64_e64 v[77:78], v[30:31], -v[26:27]
	s_wait_dscnt 0x2
	v_add_f64_e64 v[79:80], v[20:21], -v[16:17]
	;; [unrolled: 3-line block ×3, first 2 shown]
	v_add_f64_e64 v[98:99], v[14:15], -v[62:63]
	s_mov_b32 s38, 0x4267c47c
	s_mov_b32 s28, 0x42a4c3d2
	;; [unrolled: 1-line block ×27, first 2 shown]
	v_add_f64_e32 v[48:49], v[48:49], v[12:13]
	v_add_f64_e32 v[50:51], v[50:51], v[14:15]
	s_mov_b32 s34, s30
	v_mul_f64_e32 v[158:159], s[26:27], v[69:70]
	v_mul_f64_e32 v[154:155], s[24:25], v[73:74]
	;; [unrolled: 1-line block ×3, first 2 shown]
	s_mov_b32 s37, 0x3fddbe06
	s_mov_b32 s36, s38
	;; [unrolled: 1-line block ×8, first 2 shown]
	v_add_f64_e64 v[168:169], v[92:93], -v[124:125]
	v_add_f64_e64 v[170:171], v[110:111], -v[122:123]
	;; [unrolled: 1-line block ×5, first 2 shown]
	v_add_f64_e32 v[48:49], v[48:49], v[20:21]
	v_add_f64_e32 v[50:51], v[50:51], v[22:23]
	s_delay_alu instid0(VALU_DEP_2) | instskip(NEXT) | instid1(VALU_DEP_2)
	v_add_f64_e32 v[48:49], v[48:49], v[28:29]
	v_add_f64_e32 v[50:51], v[50:51], v[30:31]
	s_delay_alu instid0(VALU_DEP_2) | instskip(NEXT) | instid1(VALU_DEP_2)
	;; [unrolled: 3-line block ×3, first 2 shown]
	v_add_f64_e32 v[65:66], v[48:49], v[44:45]
	v_add_f64_e32 v[71:72], v[50:51], v[46:47]
	;; [unrolled: 1-line block ×4, first 2 shown]
	s_delay_alu instid0(VALU_DEP_4) | instskip(NEXT) | instid1(VALU_DEP_4)
	v_add_f64_e32 v[44:45], v[65:66], v[40:41]
	v_add_f64_e32 v[46:47], v[71:72], v[42:43]
	;; [unrolled: 1-line block ×4, first 2 shown]
	v_add_f64_e64 v[71:72], v[36:37], -v[32:33]
	v_add_f64_e32 v[36:37], v[44:45], v[32:33]
	v_add_f64_e32 v[38:39], v[46:47], v[34:35]
	;; [unrolled: 1-line block ×6, first 2 shown]
	v_mul_f64_e32 v[156:157], s[24:25], v[71:72]
	v_add_f64_e32 v[24:25], v[36:37], v[24:25]
	v_add_f64_e32 v[26:27], v[38:39], v[26:27]
	;; [unrolled: 1-line block ×4, first 2 shown]
	s_delay_alu instid0(VALU_DEP_4) | instskip(NEXT) | instid1(VALU_DEP_4)
	v_add_f64_e32 v[16:17], v[24:25], v[16:17]
	v_add_f64_e32 v[18:19], v[26:27], v[18:19]
	s_delay_alu instid0(VALU_DEP_2) | instskip(NEXT) | instid1(VALU_DEP_2)
	v_add_f64_e32 v[12:13], v[16:17], v[60:61]
	v_add_f64_e32 v[14:15], v[18:19], v[62:63]
	s_wait_dscnt 0x0
	v_add_f64_e64 v[16:17], v[10:11], -v[58:59]
	v_add_f64_e32 v[18:19], v[8:9], v[56:57]
	v_add_f64_e64 v[8:9], v[8:9], -v[56:57]
	v_add_f64_e32 v[10:11], v[10:11], v[58:59]
	v_add_f64_e32 v[140:141], v[12:13], v[56:57]
	;; [unrolled: 1-line block ×3, first 2 shown]
	v_mul_f64_e32 v[12:13], s[38:39], v[16:17]
	v_mul_f64_e32 v[14:15], s[28:29], v[16:17]
	;; [unrolled: 1-line block ×10, first 2 shown]
	v_fma_f64 v[26:27], v[18:19], s[20:21], -v[12:13]
	v_fma_f64 v[12:13], v[18:19], s[20:21], v[12:13]
	v_fma_f64 v[28:29], v[18:19], s[18:19], -v[14:15]
	v_fma_f64 v[14:15], v[18:19], s[18:19], v[14:15]
	v_fma_f64 v[30:31], v[18:19], s[16:17], -v[20:21]
	v_fma_f64 v[20:21], v[18:19], s[16:17], v[20:21]
	s_wait_alu 0xfffe
	v_fma_f64 v[56:57], v[18:19], s[14:15], -v[22:23]
	v_fma_f64 v[22:23], v[18:19], s[14:15], v[22:23]
	v_fma_f64 v[58:59], v[18:19], s[8:9], -v[24:25]
	v_fma_f64 v[24:25], v[18:19], s[8:9], v[24:25]
	;; [unrolled: 2-line block ×3, first 2 shown]
	v_mul_f64_e32 v[18:19], s[38:39], v[8:9]
	v_mul_f64_e32 v[8:9], s[26:27], v[8:9]
	v_fma_f64 v[106:107], v[10:11], s[18:19], v[62:63]
	v_fma_f64 v[62:63], v[10:11], s[18:19], -v[62:63]
	v_fma_f64 v[144:145], v[10:11], s[16:17], v[65:66]
	v_fma_f64 v[65:66], v[10:11], s[16:17], -v[65:66]
	;; [unrolled: 2-line block ×4, first 2 shown]
	v_add_f64_e32 v[12:13], v[52:53], v[12:13]
	v_add_f64_e32 v[28:29], v[52:53], v[28:29]
	;; [unrolled: 1-line block ×10, first 2 shown]
	v_fma_f64 v[104:105], v[10:11], s[20:21], v[18:19]
	v_fma_f64 v[18:19], v[10:11], s[20:21], -v[18:19]
	v_fma_f64 v[150:151], v[10:11], s[2:3], v[8:9]
	v_fma_f64 v[8:9], v[10:11], s[2:3], -v[8:9]
	v_add_f64_e32 v[10:11], v[52:53], v[26:27]
	v_add_f64_e32 v[62:63], v[54:55], v[62:63]
	v_add_f64_e32 v[65:66], v[54:55], v[65:66]
	v_add_f64_e32 v[160:161], v[54:55], v[146:147]
	v_add_f64_e32 v[100:101], v[54:55], v[100:101]
	v_add_f64_e32 v[164:165], v[54:55], v[148:149]
	v_add_f64_e32 v[102:103], v[54:55], v[102:103]
	v_add_f64_e32 v[52:53], v[52:53], v[16:17]
	v_mul_f64_e32 v[148:149], s[30:31], v[79:80]
	v_add_f64_e32 v[26:27], v[54:55], v[104:105]
	v_add_f64_e32 v[18:19], v[54:55], v[18:19]
	;; [unrolled: 1-line block ×6, first 2 shown]
	v_mul_f64_e32 v[8:9], s[28:29], v[98:99]
	v_mul_f64_e32 v[150:151], s[22:23], v[77:78]
	s_delay_alu instid0(VALU_DEP_2) | instskip(SKIP_1) | instid1(VALU_DEP_2)
	v_fma_f64 v[16:17], v[44:45], s[18:19], -v[8:9]
	v_fma_f64 v[8:9], v[44:45], s[18:19], v[8:9]
	v_add_f64_e32 v[10:11], v[16:17], v[10:11]
	v_mul_f64_e32 v[16:17], s[28:29], v[96:97]
	s_delay_alu instid0(VALU_DEP_3) | instskip(NEXT) | instid1(VALU_DEP_2)
	v_add_f64_e32 v[8:9], v[8:9], v[12:13]
	v_fma_f64 v[22:23], v[46:47], s[18:19], v[16:17]
	v_fma_f64 v[12:13], v[46:47], s[18:19], -v[16:17]
	s_delay_alu instid0(VALU_DEP_2) | instskip(SKIP_1) | instid1(VALU_DEP_3)
	v_add_f64_e32 v[22:23], v[22:23], v[26:27]
	v_mul_f64_e32 v[26:27], s[30:31], v[81:82]
	v_add_f64_e32 v[12:13], v[12:13], v[18:19]
	v_mul_f64_e32 v[18:19], s[26:27], v[81:82]
	s_delay_alu instid0(VALU_DEP_3) | instskip(SKIP_1) | instid1(VALU_DEP_2)
	v_fma_f64 v[144:145], v[36:37], s[16:17], -v[26:27]
	v_fma_f64 v[16:17], v[36:37], s[16:17], v[26:27]
	v_add_f64_e32 v[10:11], v[144:145], v[10:11]
	v_fma_f64 v[144:145], v[38:39], s[16:17], v[148:149]
	s_delay_alu instid0(VALU_DEP_3) | instskip(SKIP_1) | instid1(VALU_DEP_3)
	v_add_f64_e32 v[8:9], v[16:17], v[8:9]
	v_fma_f64 v[16:17], v[38:39], s[16:17], -v[148:149]
	v_add_f64_e32 v[22:23], v[144:145], v[22:23]
	v_fma_f64 v[144:145], v[32:33], s[14:15], -v[150:151]
	s_delay_alu instid0(VALU_DEP_3) | instskip(SKIP_1) | instid1(VALU_DEP_3)
	v_add_f64_e32 v[12:13], v[16:17], v[12:13]
	v_fma_f64 v[16:17], v[32:33], s[14:15], v[150:151]
	v_add_f64_e32 v[10:11], v[144:145], v[10:11]
	v_fma_f64 v[144:145], v[34:35], s[14:15], v[152:153]
	s_delay_alu instid0(VALU_DEP_3) | instskip(SKIP_1) | instid1(VALU_DEP_3)
	v_add_f64_e32 v[8:9], v[16:17], v[8:9]
	v_fma_f64 v[16:17], v[34:35], s[14:15], -v[152:153]
	v_add_f64_e32 v[22:23], v[144:145], v[22:23]
	v_fma_f64 v[144:145], v[40:41], s[8:9], -v[154:155]
	s_delay_alu instid0(VALU_DEP_3) | instskip(SKIP_1) | instid1(VALU_DEP_3)
	v_add_f64_e32 v[12:13], v[16:17], v[12:13]
	v_fma_f64 v[16:17], v[40:41], s[8:9], v[154:155]
	v_add_f64_e32 v[10:11], v[144:145], v[10:11]
	v_fma_f64 v[144:145], v[42:43], s[8:9], v[156:157]
	s_delay_alu instid0(VALU_DEP_3) | instskip(SKIP_2) | instid1(VALU_DEP_4)
	v_add_f64_e32 v[8:9], v[16:17], v[8:9]
	v_fma_f64 v[16:17], v[42:43], s[8:9], -v[156:157]
	v_mul_f64_e32 v[156:157], s[34:35], v[71:72]
	v_add_f64_e32 v[22:23], v[144:145], v[22:23]
	v_fma_f64 v[144:145], v[48:49], s[2:3], -v[158:159]
	s_delay_alu instid0(VALU_DEP_4) | instskip(SKIP_2) | instid1(VALU_DEP_4)
	v_add_f64_e32 v[12:13], v[16:17], v[12:13]
	v_fma_f64 v[16:17], v[48:49], s[2:3], v[158:159]
	v_mul_f64_e32 v[158:159], s[36:37], v[69:70]
	v_add_f64_e32 v[144:145], v[144:145], v[10:11]
	v_mul_f64_e32 v[10:11], s[26:27], v[67:68]
	s_delay_alu instid0(VALU_DEP_4) | instskip(SKIP_1) | instid1(VALU_DEP_3)
	v_add_f64_e32 v[148:149], v[16:17], v[8:9]
	v_mul_f64_e32 v[8:9], s[22:23], v[98:99]
	v_fma_f64 v[146:147], v[50:51], s[2:3], v[10:11]
	v_fma_f64 v[10:11], v[50:51], s[2:3], -v[10:11]
	s_delay_alu instid0(VALU_DEP_2) | instskip(NEXT) | instid1(VALU_DEP_2)
	v_add_f64_e32 v[146:147], v[146:147], v[22:23]
	v_add_f64_e32 v[150:151], v[10:11], v[12:13]
	v_fma_f64 v[10:11], v[44:45], s[14:15], -v[8:9]
	v_mul_f64_e32 v[12:13], s[22:23], v[96:97]
	v_fma_f64 v[22:23], v[36:37], s[2:3], -v[18:19]
	v_fma_f64 v[8:9], v[44:45], s[14:15], v[8:9]
	s_delay_alu instid0(VALU_DEP_4) | instskip(NEXT) | instid1(VALU_DEP_4)
	v_add_f64_e32 v[10:11], v[10:11], v[28:29]
	v_fma_f64 v[16:17], v[46:47], s[14:15], v[12:13]
	v_fma_f64 v[12:13], v[46:47], s[14:15], -v[12:13]
	s_delay_alu instid0(VALU_DEP_4)
	v_add_f64_e32 v[8:9], v[8:9], v[14:15]
	v_fma_f64 v[14:15], v[36:37], s[2:3], v[18:19]
	v_mul_f64_e32 v[18:19], s[26:27], v[96:97]
	v_add_f64_e32 v[10:11], v[22:23], v[10:11]
	v_mul_f64_e32 v[22:23], s[26:27], v[79:80]
	v_add_f64_e32 v[16:17], v[16:17], v[104:105]
	v_add_f64_e32 v[12:13], v[12:13], v[62:63]
	v_add_f64_e32 v[8:9], v[14:15], v[8:9]
	s_delay_alu instid0(VALU_DEP_4) | instskip(SKIP_2) | instid1(VALU_DEP_3)
	v_fma_f64 v[26:27], v[38:39], s[2:3], v[22:23]
	v_fma_f64 v[14:15], v[38:39], s[2:3], -v[22:23]
	v_mul_f64_e32 v[22:23], s[46:47], v[81:82]
	v_add_f64_e32 v[16:17], v[26:27], v[16:17]
	v_mul_f64_e32 v[26:27], s[42:43], v[77:78]
	s_delay_alu instid0(VALU_DEP_4) | instskip(NEXT) | instid1(VALU_DEP_2)
	v_add_f64_e32 v[12:13], v[14:15], v[12:13]
	v_fma_f64 v[28:29], v[32:33], s[8:9], -v[26:27]
	v_fma_f64 v[14:15], v[32:33], s[8:9], v[26:27]
	v_fma_f64 v[26:27], v[36:37], s[14:15], -v[22:23]
	s_delay_alu instid0(VALU_DEP_3) | instskip(SKIP_1) | instid1(VALU_DEP_4)
	v_add_f64_e32 v[10:11], v[28:29], v[10:11]
	v_mul_f64_e32 v[28:29], s[42:43], v[75:76]
	v_add_f64_e32 v[8:9], v[14:15], v[8:9]
	s_delay_alu instid0(VALU_DEP_2) | instskip(SKIP_1) | instid1(VALU_DEP_2)
	v_fma_f64 v[104:105], v[34:35], s[8:9], v[28:29]
	v_fma_f64 v[14:15], v[34:35], s[8:9], -v[28:29]
	v_add_f64_e32 v[16:17], v[104:105], v[16:17]
	v_mul_f64_e32 v[104:105], s[34:35], v[73:74]
	s_delay_alu instid0(VALU_DEP_3) | instskip(NEXT) | instid1(VALU_DEP_2)
	v_add_f64_e32 v[12:13], v[14:15], v[12:13]
	v_fma_f64 v[152:153], v[40:41], s[16:17], -v[104:105]
	v_fma_f64 v[14:15], v[40:41], s[16:17], v[104:105]
	s_delay_alu instid0(VALU_DEP_2) | instskip(SKIP_1) | instid1(VALU_DEP_3)
	v_add_f64_e32 v[10:11], v[152:153], v[10:11]
	v_fma_f64 v[152:153], v[42:43], s[16:17], v[156:157]
	v_add_f64_e32 v[8:9], v[14:15], v[8:9]
	v_fma_f64 v[14:15], v[42:43], s[16:17], -v[156:157]
	s_delay_alu instid0(VALU_DEP_3) | instskip(SKIP_1) | instid1(VALU_DEP_3)
	v_add_f64_e32 v[16:17], v[152:153], v[16:17]
	v_fma_f64 v[152:153], v[48:49], s[20:21], -v[158:159]
	v_add_f64_e32 v[12:13], v[14:15], v[12:13]
	v_fma_f64 v[14:15], v[48:49], s[20:21], v[158:159]
	s_delay_alu instid0(VALU_DEP_3) | instskip(SKIP_1) | instid1(VALU_DEP_3)
	v_add_f64_e32 v[152:153], v[152:153], v[10:11]
	v_mul_f64_e32 v[10:11], s[36:37], v[67:68]
	v_add_f64_e32 v[8:9], v[14:15], v[8:9]
	v_fma_f64 v[14:15], v[46:47], s[2:3], v[18:19]
	v_fma_f64 v[18:19], v[46:47], s[2:3], -v[18:19]
	s_delay_alu instid0(VALU_DEP_4) | instskip(SKIP_1) | instid1(VALU_DEP_4)
	v_fma_f64 v[154:155], v[50:51], s[20:21], v[10:11]
	v_fma_f64 v[10:11], v[50:51], s[20:21], -v[10:11]
	v_add_f64_e32 v[14:15], v[14:15], v[106:107]
	s_delay_alu instid0(VALU_DEP_4) | instskip(SKIP_4) | instid1(VALU_DEP_2)
	v_add_f64_e32 v[18:19], v[18:19], v[65:66]
	v_mul_f64_e32 v[65:66], s[44:45], v[73:74]
	v_add_f64_e32 v[154:155], v[154:155], v[16:17]
	v_mul_f64_e32 v[16:17], s[26:27], v[98:99]
	v_add_f64_e32 v[10:11], v[10:11], v[12:13]
	v_fma_f64 v[12:13], v[44:45], s[2:3], -v[16:17]
	v_fma_f64 v[16:17], v[44:45], s[2:3], v[16:17]
	s_delay_alu instid0(VALU_DEP_2) | instskip(NEXT) | instid1(VALU_DEP_2)
	v_add_f64_e32 v[12:13], v[12:13], v[30:31]
	v_add_f64_e32 v[16:17], v[16:17], v[20:21]
	v_fma_f64 v[20:21], v[36:37], s[14:15], v[22:23]
	s_delay_alu instid0(VALU_DEP_3) | instskip(SKIP_1) | instid1(VALU_DEP_3)
	v_add_f64_e32 v[12:13], v[26:27], v[12:13]
	v_mul_f64_e32 v[26:27], s[46:47], v[79:80]
	v_add_f64_e32 v[16:17], v[20:21], v[16:17]
	s_delay_alu instid0(VALU_DEP_2) | instskip(SKIP_2) | instid1(VALU_DEP_3)
	v_fma_f64 v[28:29], v[38:39], s[14:15], v[26:27]
	v_fma_f64 v[20:21], v[38:39], s[14:15], -v[26:27]
	v_mul_f64_e32 v[26:27], s[42:43], v[96:97]
	v_add_f64_e32 v[14:15], v[28:29], v[14:15]
	v_mul_f64_e32 v[28:29], s[36:37], v[77:78]
	s_delay_alu instid0(VALU_DEP_4) | instskip(NEXT) | instid1(VALU_DEP_2)
	v_add_f64_e32 v[18:19], v[20:21], v[18:19]
	v_fma_f64 v[30:31], v[32:33], s[20:21], -v[28:29]
	v_fma_f64 v[20:21], v[32:33], s[20:21], v[28:29]
	v_mul_f64_e32 v[28:29], s[36:37], v[81:82]
	s_delay_alu instid0(VALU_DEP_3) | instskip(SKIP_1) | instid1(VALU_DEP_4)
	v_add_f64_e32 v[12:13], v[30:31], v[12:13]
	v_mul_f64_e32 v[30:31], s[36:37], v[75:76]
	v_add_f64_e32 v[16:17], v[20:21], v[16:17]
	s_delay_alu instid0(VALU_DEP_2) | instskip(SKIP_2) | instid1(VALU_DEP_3)
	v_fma_f64 v[62:63], v[34:35], s[20:21], v[30:31]
	v_fma_f64 v[20:21], v[34:35], s[20:21], -v[30:31]
	v_mul_f64_e32 v[30:31], s[36:37], v[79:80]
	v_add_f64_e32 v[14:15], v[62:63], v[14:15]
	v_mul_f64_e32 v[62:63], s[28:29], v[73:74]
	s_delay_alu instid0(VALU_DEP_4) | instskip(NEXT) | instid1(VALU_DEP_2)
	v_add_f64_e32 v[18:19], v[20:21], v[18:19]
	v_fma_f64 v[104:105], v[40:41], s[18:19], -v[62:63]
	v_fma_f64 v[20:21], v[40:41], s[18:19], v[62:63]
	v_mul_f64_e32 v[62:63], s[30:31], v[75:76]
	s_delay_alu instid0(VALU_DEP_3) | instskip(SKIP_1) | instid1(VALU_DEP_4)
	v_add_f64_e32 v[12:13], v[104:105], v[12:13]
	v_mul_f64_e32 v[104:105], s[28:29], v[71:72]
	v_add_f64_e32 v[16:17], v[20:21], v[16:17]
	s_delay_alu instid0(VALU_DEP_2) | instskip(SKIP_2) | instid1(VALU_DEP_3)
	v_fma_f64 v[106:107], v[42:43], s[18:19], v[104:105]
	v_fma_f64 v[20:21], v[42:43], s[18:19], -v[104:105]
	v_mul_f64_e32 v[104:105], s[44:45], v[71:72]
	v_add_f64_e32 v[14:15], v[106:107], v[14:15]
	v_mul_f64_e32 v[106:107], s[24:25], v[69:70]
	s_delay_alu instid0(VALU_DEP_4) | instskip(NEXT) | instid1(VALU_DEP_2)
	v_add_f64_e32 v[18:19], v[20:21], v[18:19]
	v_fma_f64 v[156:157], v[48:49], s[8:9], -v[106:107]
	v_fma_f64 v[20:21], v[48:49], s[8:9], v[106:107]
	v_mul_f64_e32 v[106:107], s[40:41], v[69:70]
	s_delay_alu instid0(VALU_DEP_3) | instskip(SKIP_1) | instid1(VALU_DEP_1)
	v_add_f64_e32 v[12:13], v[156:157], v[12:13]
	v_mul_f64_e32 v[156:157], s[24:25], v[67:68]
	v_fma_f64 v[158:159], v[50:51], s[8:9], v[156:157]
	v_fma_f64 v[22:23], v[50:51], s[8:9], -v[156:157]
	v_add_f64_e32 v[156:157], v[20:21], v[16:17]
	v_mul_f64_e32 v[16:17], s[42:43], v[98:99]
	v_fma_f64 v[20:21], v[46:47], s[8:9], v[26:27]
	v_fma_f64 v[26:27], v[46:47], s[8:9], -v[26:27]
	v_add_f64_e32 v[14:15], v[158:159], v[14:15]
	v_add_f64_e32 v[158:159], v[22:23], v[18:19]
	v_fma_f64 v[22:23], v[36:37], s[20:21], -v[28:29]
	v_fma_f64 v[18:19], v[44:45], s[8:9], -v[16:17]
	v_add_f64_e32 v[20:21], v[20:21], v[160:161]
	v_fma_f64 v[16:17], v[44:45], s[8:9], v[16:17]
	v_fma_f64 v[28:29], v[36:37], s[20:21], v[28:29]
	v_add_f64_e32 v[26:27], v[26:27], v[100:101]
	v_add_f64_e32 v[18:19], v[18:19], v[56:57]
	v_mul_f64_e32 v[56:57], s[30:31], v[77:78]
	v_add_f64_e32 v[16:17], v[16:17], v[162:163]
	s_delay_alu instid0(VALU_DEP_3) | instskip(SKIP_1) | instid1(VALU_DEP_3)
	v_add_f64_e32 v[18:19], v[22:23], v[18:19]
	v_fma_f64 v[22:23], v[38:39], s[20:21], v[30:31]
	v_add_f64_e32 v[16:17], v[28:29], v[16:17]
	v_fma_f64 v[28:29], v[38:39], s[20:21], -v[30:31]
	s_delay_alu instid0(VALU_DEP_3) | instskip(SKIP_1) | instid1(VALU_DEP_3)
	v_add_f64_e32 v[20:21], v[22:23], v[20:21]
	v_fma_f64 v[22:23], v[32:33], s[16:17], -v[56:57]
	v_add_f64_e32 v[26:27], v[28:29], v[26:27]
	v_fma_f64 v[28:29], v[32:33], s[16:17], v[56:57]
	v_mul_f64_e32 v[56:57], s[34:35], v[96:97]
	s_delay_alu instid0(VALU_DEP_4) | instskip(SKIP_1) | instid1(VALU_DEP_4)
	v_add_f64_e32 v[18:19], v[22:23], v[18:19]
	v_fma_f64 v[22:23], v[34:35], s[16:17], v[62:63]
	v_add_f64_e32 v[16:17], v[28:29], v[16:17]
	v_fma_f64 v[28:29], v[34:35], s[16:17], -v[62:63]
	v_fma_f64 v[30:31], v[46:47], s[16:17], v[56:57]
	s_delay_alu instid0(VALU_DEP_4) | instskip(SKIP_1) | instid1(VALU_DEP_4)
	v_add_f64_e32 v[20:21], v[22:23], v[20:21]
	v_fma_f64 v[22:23], v[40:41], s[2:3], -v[65:66]
	v_add_f64_e32 v[26:27], v[28:29], v[26:27]
	v_fma_f64 v[28:29], v[40:41], s[2:3], v[65:66]
	v_add_f64_e32 v[30:31], v[30:31], v[164:165]
	s_delay_alu instid0(VALU_DEP_4) | instskip(SKIP_1) | instid1(VALU_DEP_4)
	v_add_f64_e32 v[18:19], v[22:23], v[18:19]
	v_fma_f64 v[22:23], v[42:43], s[2:3], v[104:105]
	v_add_f64_e32 v[16:17], v[28:29], v[16:17]
	v_fma_f64 v[28:29], v[42:43], s[2:3], -v[104:105]
	s_delay_alu instid0(VALU_DEP_3) | instskip(SKIP_1) | instid1(VALU_DEP_3)
	v_add_f64_e32 v[22:23], v[22:23], v[20:21]
	v_fma_f64 v[20:21], v[48:49], s[18:19], -v[106:107]
	v_add_f64_e32 v[26:27], v[28:29], v[26:27]
	v_fma_f64 v[28:29], v[48:49], s[18:19], v[106:107]
	s_delay_alu instid0(VALU_DEP_3) | instskip(SKIP_1) | instid1(VALU_DEP_3)
	v_add_f64_e32 v[20:21], v[20:21], v[18:19]
	v_mul_f64_e32 v[18:19], s[40:41], v[67:68]
	v_add_f64_e32 v[16:17], v[28:29], v[16:17]
	s_delay_alu instid0(VALU_DEP_2) | instskip(SKIP_1) | instid1(VALU_DEP_2)
	v_fma_f64 v[160:161], v[50:51], s[18:19], v[18:19]
	v_fma_f64 v[18:19], v[50:51], s[18:19], -v[18:19]
	v_add_f64_e32 v[22:23], v[160:161], v[22:23]
	s_delay_alu instid0(VALU_DEP_2) | instskip(SKIP_1) | instid1(VALU_DEP_1)
	v_add_f64_e32 v[18:19], v[18:19], v[26:27]
	v_mul_f64_e32 v[26:27], s[34:35], v[98:99]
	v_fma_f64 v[28:29], v[44:45], s[16:17], -v[26:27]
	v_fma_f64 v[26:27], v[44:45], s[16:17], v[26:27]
	s_delay_alu instid0(VALU_DEP_2) | instskip(SKIP_1) | instid1(VALU_DEP_3)
	v_add_f64_e32 v[28:29], v[28:29], v[58:59]
	v_mul_f64_e32 v[58:59], s[28:29], v[81:82]
	v_add_f64_e32 v[24:25], v[26:27], v[24:25]
	v_fma_f64 v[26:27], v[46:47], s[16:17], -v[56:57]
	s_delay_alu instid0(VALU_DEP_3) | instskip(SKIP_1) | instid1(VALU_DEP_3)
	v_fma_f64 v[62:63], v[36:37], s[18:19], -v[58:59]
	v_fma_f64 v[56:57], v[36:37], s[18:19], v[58:59]
	v_add_f64_e32 v[26:27], v[26:27], v[102:103]
	s_delay_alu instid0(VALU_DEP_3) | instskip(SKIP_1) | instid1(VALU_DEP_4)
	v_add_f64_e32 v[28:29], v[62:63], v[28:29]
	v_mul_f64_e32 v[62:63], s[28:29], v[79:80]
	v_add_f64_e32 v[24:25], v[56:57], v[24:25]
	s_delay_alu instid0(VALU_DEP_2) | instskip(SKIP_1) | instid1(VALU_DEP_2)
	v_fma_f64 v[65:66], v[38:39], s[18:19], v[62:63]
	v_fma_f64 v[56:57], v[38:39], s[18:19], -v[62:63]
	v_add_f64_e32 v[30:31], v[65:66], v[30:31]
	v_mul_f64_e32 v[65:66], s[44:45], v[77:78]
	s_delay_alu instid0(VALU_DEP_3) | instskip(SKIP_1) | instid1(VALU_DEP_3)
	v_add_f64_e32 v[26:27], v[56:57], v[26:27]
	v_mul_f64_e32 v[77:78], s[40:41], v[77:78]
	v_fma_f64 v[100:101], v[32:33], s[2:3], -v[65:66]
	v_fma_f64 v[56:57], v[32:33], s[2:3], v[65:66]
	s_delay_alu instid0(VALU_DEP_2) | instskip(SKIP_1) | instid1(VALU_DEP_3)
	v_add_f64_e32 v[28:29], v[100:101], v[28:29]
	v_mul_f64_e32 v[100:101], s[44:45], v[75:76]
	v_add_f64_e32 v[24:25], v[56:57], v[24:25]
	v_mul_f64_e32 v[75:76], s[40:41], v[75:76]
	s_delay_alu instid0(VALU_DEP_3) | instskip(SKIP_1) | instid1(VALU_DEP_2)
	v_fma_f64 v[104:105], v[34:35], s[2:3], v[100:101]
	v_fma_f64 v[56:57], v[34:35], s[2:3], -v[100:101]
	v_add_f64_e32 v[30:31], v[104:105], v[30:31]
	v_mul_f64_e32 v[104:105], s[36:37], v[73:74]
	s_delay_alu instid0(VALU_DEP_3) | instskip(SKIP_1) | instid1(VALU_DEP_3)
	v_add_f64_e32 v[26:27], v[56:57], v[26:27]
	v_mul_f64_e32 v[73:74], s[22:23], v[73:74]
	v_fma_f64 v[106:107], v[40:41], s[20:21], -v[104:105]
	v_fma_f64 v[56:57], v[40:41], s[20:21], v[104:105]
	v_add_f64_e64 v[104:105], v[86:87], -v[134:135]
	s_delay_alu instid0(VALU_DEP_3) | instskip(SKIP_1) | instid1(VALU_DEP_4)
	v_add_f64_e32 v[28:29], v[106:107], v[28:29]
	v_mul_f64_e32 v[106:107], s[36:37], v[71:72]
	v_add_f64_e32 v[24:25], v[56:57], v[24:25]
	v_mul_f64_e32 v[71:72], s[22:23], v[71:72]
	s_delay_alu instid0(VALU_DEP_3) | instskip(SKIP_2) | instid1(VALU_DEP_3)
	v_fma_f64 v[160:161], v[42:43], s[20:21], v[106:107]
	v_fma_f64 v[56:57], v[42:43], s[20:21], -v[106:107]
	v_add_f64_e64 v[106:107], v[4:5], -v[136:137]
	v_add_f64_e32 v[30:31], v[160:161], v[30:31]
	v_mul_f64_e32 v[160:161], s[22:23], v[69:70]
	s_delay_alu instid0(VALU_DEP_4) | instskip(SKIP_1) | instid1(VALU_DEP_3)
	v_add_f64_e32 v[26:27], v[56:57], v[26:27]
	v_mul_f64_e32 v[69:70], s[34:35], v[69:70]
	v_fma_f64 v[162:163], v[48:49], s[14:15], -v[160:161]
	v_fma_f64 v[56:57], v[48:49], s[14:15], v[160:161]
	v_add_f64_e64 v[160:161], v[84:85], -v[132:133]
	s_delay_alu instid0(VALU_DEP_3) | instskip(SKIP_1) | instid1(VALU_DEP_4)
	v_add_f64_e32 v[28:29], v[162:163], v[28:29]
	v_mul_f64_e32 v[162:163], s[22:23], v[67:68]
	v_add_f64_e32 v[24:25], v[56:57], v[24:25]
	v_mul_f64_e32 v[56:57], s[36:37], v[98:99]
	v_mul_f64_e32 v[188:189], s[22:23], v[160:161]
	s_delay_alu instid0(VALU_DEP_4) | instskip(SKIP_2) | instid1(VALU_DEP_3)
	v_fma_f64 v[58:59], v[50:51], s[14:15], -v[162:163]
	v_fma_f64 v[164:165], v[50:51], s[14:15], v[162:163]
	v_add_f64_e64 v[162:163], v[90:91], -v[130:131]
	v_add_f64_e32 v[26:27], v[58:59], v[26:27]
	v_fma_f64 v[58:59], v[44:45], s[20:21], -v[56:57]
	v_fma_f64 v[44:45], v[44:45], s[20:21], v[56:57]
	v_add_f64_e32 v[30:31], v[164:165], v[30:31]
	v_add_f64_e64 v[164:165], v[88:89], -v[128:129]
	s_delay_alu instid0(VALU_DEP_4) | instskip(SKIP_3) | instid1(VALU_DEP_3)
	v_add_f64_e32 v[62:63], v[58:59], v[60:61]
	v_mul_f64_e32 v[58:59], s[36:37], v[96:97]
	v_add_f64_e32 v[44:45], v[44:45], v[52:53]
	v_fma_f64 v[96:97], v[48:49], s[16:17], -v[69:70]
	v_fma_f64 v[60:61], v[46:47], s[20:21], v[58:59]
	v_fma_f64 v[46:47], v[46:47], s[20:21], -v[58:59]
	v_add_f64_e32 v[58:59], v[6:7], v[138:139]
	s_delay_alu instid0(VALU_DEP_3) | instskip(SKIP_1) | instid1(VALU_DEP_4)
	v_add_f64_e32 v[65:66], v[60:61], v[166:167]
	v_mul_f64_e32 v[60:61], s[24:25], v[81:82]
	v_add_f64_e32 v[46:47], v[46:47], v[54:55]
	v_add_f64_e64 v[166:167], v[94:95], -v[126:127]
	s_delay_alu instid0(VALU_DEP_3) | instskip(SKIP_2) | instid1(VALU_DEP_3)
	v_fma_f64 v[81:82], v[36:37], s[8:9], -v[60:61]
	v_fma_f64 v[36:37], v[36:37], s[8:9], v[60:61]
	v_add_f64_e32 v[60:61], v[88:89], v[128:129]
	v_add_f64_e32 v[81:82], v[81:82], v[62:63]
	v_mul_f64_e32 v[62:63], s[24:25], v[79:80]
	s_delay_alu instid0(VALU_DEP_4) | instskip(SKIP_1) | instid1(VALU_DEP_3)
	v_add_f64_e32 v[36:37], v[36:37], v[44:45]
	v_mul_f64_e32 v[44:45], s[28:29], v[160:161]
	v_fma_f64 v[79:80], v[38:39], s[8:9], v[62:63]
	v_fma_f64 v[38:39], v[38:39], s[8:9], -v[62:63]
	v_add_f64_e32 v[62:63], v[86:87], v[134:135]
	s_delay_alu instid0(VALU_DEP_3)
	v_add_f64_e32 v[65:66], v[79:80], v[65:66]
	v_fma_f64 v[79:80], v[32:33], s[18:19], -v[77:78]
	v_fma_f64 v[32:33], v[32:33], s[18:19], v[77:78]
	v_add_f64_e32 v[38:39], v[38:39], v[46:47]
	v_fma_f64 v[46:47], v[62:63], s[18:19], -v[44:45]
	v_fma_f64 v[190:191], v[62:63], s[14:15], v[188:189]
	v_add_f64_e32 v[79:80], v[79:80], v[81:82]
	v_fma_f64 v[81:82], v[34:35], s[18:19], v[75:76]
	v_fma_f64 v[34:35], v[34:35], s[18:19], -v[75:76]
	v_add_f64_e32 v[32:33], v[32:33], v[36:37]
	v_fma_f64 v[36:37], v[48:49], s[16:17], v[69:70]
	v_mul_f64_e32 v[48:49], s[38:39], v[106:107]
	v_add_f64_e32 v[76:77], v[112:113], v[116:117]
	v_add_f64_e32 v[65:66], v[81:82], v[65:66]
	v_fma_f64 v[81:82], v[40:41], s[14:15], -v[73:74]
	v_fma_f64 v[40:41], v[40:41], s[14:15], v[73:74]
	v_add_f64_e32 v[34:35], v[34:35], v[38:39]
	v_add_f64_e32 v[74:75], v[94:95], v[126:127]
	s_delay_alu instid0(VALU_DEP_4)
	v_add_f64_e32 v[79:80], v[81:82], v[79:80]
	v_fma_f64 v[81:82], v[42:43], s[14:15], v[71:72]
	v_fma_f64 v[42:43], v[42:43], s[14:15], -v[71:72]
	v_add_f64_e32 v[32:33], v[40:41], v[32:33]
	v_add_f64_e32 v[40:41], v[84:85], v[132:133]
	;; [unrolled: 1-line block ×6, first 2 shown]
	v_mul_f64_e32 v[66:67], s[34:35], v[67:68]
	v_add_f64_e32 v[34:35], v[42:43], v[34:35]
	v_add_f64_e32 v[100:101], v[36:37], v[32:33]
	;; [unrolled: 1-line block ×3, first 2 shown]
	v_mul_lo_u16 v65, v212, 13
	s_delay_alu instid0(VALU_DEP_1) | instskip(NEXT) | instid1(VALU_DEP_1)
	v_and_b32_e32 v65, 0xffff, v65
	v_lshlrev_b32_e32 v65, 4, v65
	v_fma_f64 v[79:80], v[50:51], s[16:17], v[66:67]
	v_fma_f64 v[38:39], v[50:51], s[16:17], -v[66:67]
	v_add_f64_e32 v[66:67], v[92:93], v[124:125]
	s_delay_alu instid0(VALU_DEP_3) | instskip(SKIP_1) | instid1(VALU_DEP_4)
	v_add_f64_e32 v[98:99], v[79:80], v[81:82]
	v_add_f64_e64 v[82:83], v[6:7], -v[138:139]
	v_add_f64_e32 v[102:103], v[38:39], v[34:35]
	v_add_f64_e32 v[78:79], v[110:111], v[122:123]
	s_delay_alu instid0(VALU_DEP_3) | instskip(NEXT) | instid1(VALU_DEP_1)
	v_mul_f64_e32 v[32:33], s[38:39], v[82:83]
	v_fma_f64 v[34:35], v[36:37], s[20:21], v[32:33]
	s_delay_alu instid0(VALU_DEP_1) | instskip(SKIP_1) | instid1(VALU_DEP_1)
	v_add_f64_e32 v[38:39], v[0:1], v[34:35]
	v_mul_f64_e32 v[34:35], s[28:29], v[104:105]
	v_fma_f64 v[42:43], v[40:41], s[18:19], v[34:35]
	s_delay_alu instid0(VALU_DEP_1) | instskip(SKIP_1) | instid1(VALU_DEP_1)
	v_add_f64_e32 v[42:43], v[42:43], v[38:39]
	v_fma_f64 v[38:39], v[58:59], s[20:21], -v[48:49]
	v_add_f64_e32 v[38:39], v[2:3], v[38:39]
	s_delay_alu instid0(VALU_DEP_1) | instskip(SKIP_1) | instid1(VALU_DEP_1)
	v_add_f64_e32 v[46:47], v[46:47], v[38:39]
	v_mul_f64_e32 v[38:39], s[30:31], v[162:163]
	v_fma_f64 v[50:51], v[60:61], s[16:17], v[38:39]
	s_delay_alu instid0(VALU_DEP_1) | instskip(SKIP_1) | instid1(VALU_DEP_1)
	v_add_f64_e32 v[52:53], v[50:51], v[42:43]
	v_mul_f64_e32 v[50:51], s[30:31], v[164:165]
	v_fma_f64 v[42:43], v[70:71], s[16:17], -v[50:51]
	s_delay_alu instid0(VALU_DEP_1) | instskip(SKIP_1) | instid1(VALU_DEP_1)
	v_add_f64_e32 v[46:47], v[42:43], v[46:47]
	v_mul_f64_e32 v[42:43], s[22:23], v[166:167]
	v_fma_f64 v[54:55], v[66:67], s[14:15], v[42:43]
	s_delay_alu instid0(VALU_DEP_1) | instskip(SKIP_1) | instid1(VALU_DEP_1)
	v_add_f64_e32 v[54:55], v[54:55], v[52:53]
	v_mul_f64_e32 v[52:53], s[22:23], v[168:169]
	v_fma_f64 v[56:57], v[74:75], s[14:15], -v[52:53]
	;; [unrolled: 8-line block ×3, first 2 shown]
	s_delay_alu instid0(VALU_DEP_1) | instskip(SKIP_1) | instid1(VALU_DEP_1)
	v_add_f64_e32 v[174:175], v[54:55], v[68:69]
	v_mul_f64_e32 v[54:55], s[26:27], v[176:177]
	v_fma_f64 v[68:69], v[76:77], s[2:3], v[54:55]
	s_delay_alu instid0(VALU_DEP_1) | instskip(SKIP_2) | instid1(VALU_DEP_1)
	v_add_f64_e32 v[182:183], v[68:69], v[80:81]
	v_add_f64_e32 v[80:81], v[114:115], v[118:119]
	v_mul_f64_e32 v[68:69], s[26:27], v[178:179]
	v_fma_f64 v[180:181], v[80:81], s[2:3], -v[68:69]
	s_delay_alu instid0(VALU_DEP_1)
	v_add_f64_e32 v[184:185], v[180:181], v[174:175]
	v_mul_f64_e32 v[174:175], s[28:29], v[82:83]
	scratch_store_b128 off, v[182:185], off offset:8 ; 16-byte Folded Spill
	v_fma_f64 v[180:181], v[36:37], s[18:19], -v[174:175]
	v_mul_f64_e32 v[182:183], s[22:23], v[104:105]
	v_fma_f64 v[174:175], v[36:37], s[18:19], v[174:175]
	s_delay_alu instid0(VALU_DEP_3) | instskip(NEXT) | instid1(VALU_DEP_3)
	v_add_f64_e32 v[180:181], v[0:1], v[180:181]
	v_fma_f64 v[184:185], v[40:41], s[14:15], -v[182:183]
	s_delay_alu instid0(VALU_DEP_3) | instskip(SKIP_1) | instid1(VALU_DEP_3)
	v_add_f64_e32 v[174:175], v[0:1], v[174:175]
	v_fma_f64 v[182:183], v[40:41], s[14:15], v[182:183]
	v_add_f64_e32 v[180:181], v[184:185], v[180:181]
	v_mul_f64_e32 v[184:185], s[28:29], v[106:107]
	s_delay_alu instid0(VALU_DEP_3) | instskip(NEXT) | instid1(VALU_DEP_2)
	v_add_f64_e32 v[174:175], v[182:183], v[174:175]
	v_fma_f64 v[186:187], v[58:59], s[18:19], v[184:185]
	v_fma_f64 v[182:183], v[58:59], s[18:19], -v[184:185]
	v_fma_f64 v[184:185], v[62:63], s[14:15], -v[188:189]
	v_mul_f64_e32 v[188:189], s[26:27], v[160:161]
	s_delay_alu instid0(VALU_DEP_4) | instskip(NEXT) | instid1(VALU_DEP_4)
	v_add_f64_e32 v[186:187], v[2:3], v[186:187]
	v_add_f64_e32 v[182:183], v[2:3], v[182:183]
	s_delay_alu instid0(VALU_DEP_2) | instskip(SKIP_1) | instid1(VALU_DEP_3)
	v_add_f64_e32 v[186:187], v[190:191], v[186:187]
	v_mul_f64_e32 v[190:191], s[26:27], v[162:163]
	v_add_f64_e32 v[182:183], v[184:185], v[182:183]
	s_delay_alu instid0(VALU_DEP_2) | instskip(SKIP_2) | instid1(VALU_DEP_3)
	v_fma_f64 v[192:193], v[60:61], s[2:3], -v[190:191]
	v_fma_f64 v[184:185], v[60:61], s[2:3], v[190:191]
	v_fma_f64 v[190:191], v[62:63], s[2:3], v[188:189]
	v_add_f64_e32 v[180:181], v[192:193], v[180:181]
	v_mul_f64_e32 v[192:193], s[26:27], v[164:165]
	s_delay_alu instid0(VALU_DEP_4) | instskip(NEXT) | instid1(VALU_DEP_2)
	v_add_f64_e32 v[174:175], v[184:185], v[174:175]
	v_fma_f64 v[194:195], v[70:71], s[2:3], v[192:193]
	v_fma_f64 v[184:185], v[70:71], s[2:3], -v[192:193]
	s_delay_alu instid0(VALU_DEP_2) | instskip(SKIP_1) | instid1(VALU_DEP_3)
	v_add_f64_e32 v[186:187], v[194:195], v[186:187]
	v_mul_f64_e32 v[194:195], s[42:43], v[166:167]
	v_add_f64_e32 v[182:183], v[184:185], v[182:183]
	s_delay_alu instid0(VALU_DEP_2) | instskip(SKIP_1) | instid1(VALU_DEP_2)
	v_fma_f64 v[196:197], v[66:67], s[8:9], -v[194:195]
	v_fma_f64 v[184:185], v[66:67], s[8:9], v[194:195]
	v_add_f64_e32 v[180:181], v[196:197], v[180:181]
	v_mul_f64_e32 v[196:197], s[42:43], v[168:169]
	s_delay_alu instid0(VALU_DEP_3) | instskip(NEXT) | instid1(VALU_DEP_2)
	v_add_f64_e32 v[174:175], v[184:185], v[174:175]
	v_fma_f64 v[198:199], v[74:75], s[8:9], v[196:197]
	v_fma_f64 v[184:185], v[74:75], s[8:9], -v[196:197]
	s_delay_alu instid0(VALU_DEP_2) | instskip(SKIP_1) | instid1(VALU_DEP_3)
	v_add_f64_e32 v[186:187], v[198:199], v[186:187]
	v_mul_f64_e32 v[198:199], s[34:35], v[170:171]
	v_add_f64_e32 v[182:183], v[184:185], v[182:183]
	s_delay_alu instid0(VALU_DEP_2) | instskip(SKIP_1) | instid1(VALU_DEP_2)
	v_fma_f64 v[200:201], v[72:73], s[16:17], -v[198:199]
	v_fma_f64 v[184:185], v[72:73], s[16:17], v[198:199]
	v_add_f64_e32 v[180:181], v[200:201], v[180:181]
	v_mul_f64_e32 v[200:201], s[34:35], v[172:173]
	s_delay_alu instid0(VALU_DEP_3) | instskip(NEXT) | instid1(VALU_DEP_2)
	v_add_f64_e32 v[174:175], v[184:185], v[174:175]
	v_fma_f64 v[202:203], v[78:79], s[16:17], v[200:201]
	v_fma_f64 v[184:185], v[78:79], s[16:17], -v[200:201]
	s_delay_alu instid0(VALU_DEP_2) | instskip(SKIP_1) | instid1(VALU_DEP_3)
	v_add_f64_e32 v[186:187], v[202:203], v[186:187]
	v_mul_f64_e32 v[202:203], s[36:37], v[176:177]
	v_add_f64_e32 v[182:183], v[184:185], v[182:183]
	s_delay_alu instid0(VALU_DEP_2) | instskip(SKIP_1) | instid1(VALU_DEP_2)
	v_fma_f64 v[204:205], v[76:77], s[20:21], -v[202:203]
	v_fma_f64 v[184:185], v[76:77], s[20:21], v[202:203]
	v_add_f64_e32 v[206:207], v[204:205], v[180:181]
	v_mul_f64_e32 v[180:181], s[36:37], v[178:179]
	s_delay_alu instid0(VALU_DEP_3) | instskip(SKIP_1) | instid1(VALU_DEP_3)
	v_add_f64_e32 v[184:185], v[184:185], v[174:175]
	v_mul_f64_e32 v[174:175], s[30:31], v[82:83]
	v_fma_f64 v[204:205], v[80:81], s[20:21], v[180:181]
	v_fma_f64 v[180:181], v[80:81], s[20:21], -v[180:181]
	s_delay_alu instid0(VALU_DEP_2) | instskip(NEXT) | instid1(VALU_DEP_2)
	v_add_f64_e32 v[208:209], v[204:205], v[186:187]
	v_add_f64_e32 v[186:187], v[180:181], v[182:183]
	v_fma_f64 v[180:181], v[36:37], s[16:17], -v[174:175]
	v_mul_f64_e32 v[182:183], s[26:27], v[104:105]
	v_fma_f64 v[174:175], v[36:37], s[16:17], v[174:175]
	s_clause 0x1
	scratch_store_b128 off, v[206:209], off offset:56
	scratch_store_b128 off, v[184:187], off offset:24
	v_add_f64_e32 v[180:181], v[0:1], v[180:181]
	v_fma_f64 v[184:185], v[40:41], s[2:3], -v[182:183]
	v_add_f64_e32 v[174:175], v[0:1], v[174:175]
	v_fma_f64 v[182:183], v[40:41], s[2:3], v[182:183]
	s_delay_alu instid0(VALU_DEP_3) | instskip(SKIP_1) | instid1(VALU_DEP_3)
	v_add_f64_e32 v[180:181], v[184:185], v[180:181]
	v_mul_f64_e32 v[184:185], s[30:31], v[106:107]
	v_add_f64_e32 v[174:175], v[182:183], v[174:175]
	s_delay_alu instid0(VALU_DEP_2) | instskip(SKIP_3) | instid1(VALU_DEP_4)
	v_fma_f64 v[186:187], v[58:59], s[16:17], v[184:185]
	v_fma_f64 v[182:183], v[58:59], s[16:17], -v[184:185]
	v_fma_f64 v[184:185], v[62:63], s[2:3], -v[188:189]
	v_mul_f64_e32 v[188:189], s[42:43], v[160:161]
	v_add_f64_e32 v[186:187], v[2:3], v[186:187]
	s_delay_alu instid0(VALU_DEP_4) | instskip(NEXT) | instid1(VALU_DEP_2)
	v_add_f64_e32 v[182:183], v[2:3], v[182:183]
	v_add_f64_e32 v[186:187], v[190:191], v[186:187]
	v_mul_f64_e32 v[190:191], s[46:47], v[162:163]
	s_delay_alu instid0(VALU_DEP_3) | instskip(NEXT) | instid1(VALU_DEP_2)
	v_add_f64_e32 v[182:183], v[184:185], v[182:183]
	v_fma_f64 v[192:193], v[60:61], s[14:15], -v[190:191]
	v_fma_f64 v[184:185], v[60:61], s[14:15], v[190:191]
	v_fma_f64 v[190:191], v[62:63], s[8:9], v[188:189]
	s_delay_alu instid0(VALU_DEP_3) | instskip(SKIP_1) | instid1(VALU_DEP_4)
	v_add_f64_e32 v[180:181], v[192:193], v[180:181]
	v_mul_f64_e32 v[192:193], s[46:47], v[164:165]
	v_add_f64_e32 v[174:175], v[184:185], v[174:175]
	s_delay_alu instid0(VALU_DEP_2) | instskip(SKIP_1) | instid1(VALU_DEP_2)
	v_fma_f64 v[194:195], v[70:71], s[14:15], v[192:193]
	v_fma_f64 v[184:185], v[70:71], s[14:15], -v[192:193]
	v_add_f64_e32 v[186:187], v[194:195], v[186:187]
	v_mul_f64_e32 v[194:195], s[36:37], v[166:167]
	s_delay_alu instid0(VALU_DEP_3) | instskip(NEXT) | instid1(VALU_DEP_2)
	v_add_f64_e32 v[182:183], v[184:185], v[182:183]
	v_fma_f64 v[196:197], v[66:67], s[20:21], -v[194:195]
	v_fma_f64 v[184:185], v[66:67], s[20:21], v[194:195]
	s_delay_alu instid0(VALU_DEP_2) | instskip(SKIP_1) | instid1(VALU_DEP_3)
	v_add_f64_e32 v[180:181], v[196:197], v[180:181]
	v_mul_f64_e32 v[196:197], s[36:37], v[168:169]
	v_add_f64_e32 v[174:175], v[184:185], v[174:175]
	s_delay_alu instid0(VALU_DEP_2) | instskip(SKIP_1) | instid1(VALU_DEP_2)
	v_fma_f64 v[198:199], v[74:75], s[20:21], v[196:197]
	v_fma_f64 v[184:185], v[74:75], s[20:21], -v[196:197]
	v_add_f64_e32 v[186:187], v[198:199], v[186:187]
	v_mul_f64_e32 v[198:199], s[28:29], v[170:171]
	s_delay_alu instid0(VALU_DEP_3) | instskip(NEXT) | instid1(VALU_DEP_2)
	v_add_f64_e32 v[182:183], v[184:185], v[182:183]
	v_fma_f64 v[200:201], v[72:73], s[18:19], -v[198:199]
	v_fma_f64 v[184:185], v[72:73], s[18:19], v[198:199]
	s_delay_alu instid0(VALU_DEP_2) | instskip(SKIP_1) | instid1(VALU_DEP_3)
	;; [unrolled: 13-line block ×3, first 2 shown]
	v_add_f64_e32 v[206:207], v[204:205], v[180:181]
	v_mul_f64_e32 v[180:181], s[24:25], v[178:179]
	v_add_f64_e32 v[184:185], v[184:185], v[174:175]
	v_mul_f64_e32 v[174:175], s[22:23], v[82:83]
	s_delay_alu instid0(VALU_DEP_3) | instskip(SKIP_1) | instid1(VALU_DEP_2)
	v_fma_f64 v[204:205], v[80:81], s[8:9], v[180:181]
	v_fma_f64 v[180:181], v[80:81], s[8:9], -v[180:181]
	v_add_f64_e32 v[208:209], v[204:205], v[186:187]
	s_delay_alu instid0(VALU_DEP_2)
	v_add_f64_e32 v[186:187], v[180:181], v[182:183]
	v_fma_f64 v[180:181], v[36:37], s[14:15], -v[174:175]
	v_mul_f64_e32 v[182:183], s[42:43], v[104:105]
	v_fma_f64 v[174:175], v[36:37], s[14:15], v[174:175]
	s_clause 0x1
	scratch_store_b128 off, v[206:209], off offset:72
	scratch_store_b128 off, v[184:187], off offset:40
	v_add_f64_e32 v[180:181], v[0:1], v[180:181]
	v_fma_f64 v[184:185], v[40:41], s[8:9], -v[182:183]
	v_add_f64_e32 v[174:175], v[0:1], v[174:175]
	v_fma_f64 v[182:183], v[40:41], s[8:9], v[182:183]
	s_delay_alu instid0(VALU_DEP_3) | instskip(SKIP_1) | instid1(VALU_DEP_3)
	v_add_f64_e32 v[180:181], v[184:185], v[180:181]
	v_mul_f64_e32 v[184:185], s[22:23], v[106:107]
	v_add_f64_e32 v[174:175], v[182:183], v[174:175]
	s_delay_alu instid0(VALU_DEP_2)
	v_fma_f64 v[186:187], v[58:59], s[14:15], v[184:185]
	v_fma_f64 v[182:183], v[58:59], s[14:15], -v[184:185]
	v_fma_f64 v[184:185], v[62:63], s[8:9], -v[188:189]
	v_mul_f64_e32 v[188:189], s[34:35], v[160:161]
	v_mul_f64_e32 v[160:161], s[36:37], v[160:161]
	v_add_f64_e32 v[186:187], v[2:3], v[186:187]
	v_add_f64_e32 v[182:183], v[2:3], v[182:183]
	s_delay_alu instid0(VALU_DEP_2) | instskip(SKIP_1) | instid1(VALU_DEP_3)
	v_add_f64_e32 v[186:187], v[190:191], v[186:187]
	v_mul_f64_e32 v[190:191], s[36:37], v[162:163]
	v_add_f64_e32 v[182:183], v[184:185], v[182:183]
	s_delay_alu instid0(VALU_DEP_2) | instskip(SKIP_2) | instid1(VALU_DEP_3)
	v_fma_f64 v[192:193], v[60:61], s[20:21], -v[190:191]
	v_fma_f64 v[184:185], v[60:61], s[20:21], v[190:191]
	v_fma_f64 v[190:191], v[62:63], s[16:17], v[188:189]
	v_add_f64_e32 v[180:181], v[192:193], v[180:181]
	v_mul_f64_e32 v[192:193], s[36:37], v[164:165]
	s_delay_alu instid0(VALU_DEP_4) | instskip(NEXT) | instid1(VALU_DEP_2)
	v_add_f64_e32 v[174:175], v[184:185], v[174:175]
	v_fma_f64 v[194:195], v[70:71], s[20:21], v[192:193]
	v_fma_f64 v[184:185], v[70:71], s[20:21], -v[192:193]
	s_delay_alu instid0(VALU_DEP_2) | instskip(SKIP_1) | instid1(VALU_DEP_3)
	v_add_f64_e32 v[186:187], v[194:195], v[186:187]
	v_mul_f64_e32 v[194:195], s[30:31], v[166:167]
	v_add_f64_e32 v[182:183], v[184:185], v[182:183]
	s_delay_alu instid0(VALU_DEP_2) | instskip(SKIP_1) | instid1(VALU_DEP_2)
	v_fma_f64 v[196:197], v[66:67], s[16:17], -v[194:195]
	v_fma_f64 v[184:185], v[66:67], s[16:17], v[194:195]
	v_add_f64_e32 v[180:181], v[196:197], v[180:181]
	v_mul_f64_e32 v[196:197], s[30:31], v[168:169]
	s_delay_alu instid0(VALU_DEP_3) | instskip(NEXT) | instid1(VALU_DEP_2)
	v_add_f64_e32 v[174:175], v[184:185], v[174:175]
	v_fma_f64 v[198:199], v[74:75], s[16:17], v[196:197]
	v_fma_f64 v[184:185], v[74:75], s[16:17], -v[196:197]
	s_delay_alu instid0(VALU_DEP_2) | instskip(SKIP_1) | instid1(VALU_DEP_3)
	v_add_f64_e32 v[186:187], v[198:199], v[186:187]
	v_mul_f64_e32 v[198:199], s[44:45], v[170:171]
	v_add_f64_e32 v[182:183], v[184:185], v[182:183]
	s_delay_alu instid0(VALU_DEP_2) | instskip(SKIP_1) | instid1(VALU_DEP_2)
	v_fma_f64 v[200:201], v[72:73], s[2:3], -v[198:199]
	v_fma_f64 v[184:185], v[72:73], s[2:3], v[198:199]
	v_add_f64_e32 v[180:181], v[200:201], v[180:181]
	v_mul_f64_e32 v[200:201], s[44:45], v[172:173]
	s_delay_alu instid0(VALU_DEP_3) | instskip(NEXT) | instid1(VALU_DEP_2)
	v_add_f64_e32 v[174:175], v[184:185], v[174:175]
	v_fma_f64 v[202:203], v[78:79], s[2:3], v[200:201]
	v_fma_f64 v[184:185], v[78:79], s[2:3], -v[200:201]
	s_delay_alu instid0(VALU_DEP_2) | instskip(SKIP_1) | instid1(VALU_DEP_3)
	v_add_f64_e32 v[186:187], v[202:203], v[186:187]
	v_mul_f64_e32 v[202:203], s[40:41], v[176:177]
	v_add_f64_e32 v[182:183], v[184:185], v[182:183]
	s_delay_alu instid0(VALU_DEP_2) | instskip(SKIP_1) | instid1(VALU_DEP_2)
	v_fma_f64 v[204:205], v[76:77], s[18:19], -v[202:203]
	v_fma_f64 v[184:185], v[76:77], s[18:19], v[202:203]
	v_add_f64_e32 v[206:207], v[204:205], v[180:181]
	v_mul_f64_e32 v[180:181], s[40:41], v[178:179]
	s_delay_alu instid0(VALU_DEP_3) | instskip(SKIP_2) | instid1(VALU_DEP_4)
	v_add_f64_e32 v[184:185], v[184:185], v[174:175]
	v_mul_f64_e32 v[174:175], s[24:25], v[82:83]
	v_mul_f64_e32 v[82:83], s[26:27], v[82:83]
	v_fma_f64 v[204:205], v[80:81], s[18:19], v[180:181]
	v_fma_f64 v[180:181], v[80:81], s[18:19], -v[180:181]
	s_delay_alu instid0(VALU_DEP_2) | instskip(NEXT) | instid1(VALU_DEP_2)
	v_add_f64_e32 v[208:209], v[204:205], v[186:187]
	v_add_f64_e32 v[186:187], v[180:181], v[182:183]
	v_fma_f64 v[180:181], v[36:37], s[8:9], -v[174:175]
	v_mul_f64_e32 v[182:183], s[34:35], v[104:105]
	v_fma_f64 v[174:175], v[36:37], s[8:9], v[174:175]
	v_mul_f64_e32 v[104:105], s[36:37], v[104:105]
	s_clause 0x1
	scratch_store_b128 off, v[206:209], off offset:88
	scratch_store_b128 off, v[184:187], off offset:104
	v_add_f64_e32 v[180:181], v[0:1], v[180:181]
	v_fma_f64 v[184:185], v[40:41], s[16:17], -v[182:183]
	v_add_f64_e32 v[174:175], v[0:1], v[174:175]
	v_fma_f64 v[182:183], v[40:41], s[16:17], v[182:183]
	s_delay_alu instid0(VALU_DEP_3) | instskip(SKIP_1) | instid1(VALU_DEP_3)
	v_add_f64_e32 v[180:181], v[184:185], v[180:181]
	v_mul_f64_e32 v[184:185], s[24:25], v[106:107]
	v_add_f64_e32 v[174:175], v[182:183], v[174:175]
	v_mul_f64_e32 v[106:107], s[26:27], v[106:107]
	s_delay_alu instid0(VALU_DEP_3) | instskip(SKIP_2) | instid1(VALU_DEP_3)
	v_fma_f64 v[186:187], v[58:59], s[8:9], v[184:185]
	v_fma_f64 v[182:183], v[58:59], s[8:9], -v[184:185]
	v_fma_f64 v[184:185], v[62:63], s[16:17], -v[188:189]
	v_add_f64_e32 v[186:187], v[2:3], v[186:187]
	s_delay_alu instid0(VALU_DEP_3) | instskip(NEXT) | instid1(VALU_DEP_2)
	v_add_f64_e32 v[182:183], v[2:3], v[182:183]
	v_add_f64_e32 v[186:187], v[190:191], v[186:187]
	v_mul_f64_e32 v[190:191], s[28:29], v[162:163]
	s_delay_alu instid0(VALU_DEP_3) | instskip(SKIP_1) | instid1(VALU_DEP_3)
	v_add_f64_e32 v[182:183], v[184:185], v[182:183]
	v_mul_f64_e32 v[162:163], s[24:25], v[162:163]
	v_fma_f64 v[192:193], v[60:61], s[18:19], -v[190:191]
	v_fma_f64 v[184:185], v[60:61], s[18:19], v[190:191]
	s_delay_alu instid0(VALU_DEP_2) | instskip(SKIP_1) | instid1(VALU_DEP_3)
	v_add_f64_e32 v[180:181], v[192:193], v[180:181]
	v_mul_f64_e32 v[192:193], s[28:29], v[164:165]
	v_add_f64_e32 v[174:175], v[184:185], v[174:175]
	v_mul_f64_e32 v[164:165], s[24:25], v[164:165]
	s_delay_alu instid0(VALU_DEP_3) | instskip(SKIP_1) | instid1(VALU_DEP_2)
	v_fma_f64 v[194:195], v[70:71], s[18:19], v[192:193]
	v_fma_f64 v[184:185], v[70:71], s[18:19], -v[192:193]
	v_add_f64_e32 v[186:187], v[194:195], v[186:187]
	v_mul_f64_e32 v[194:195], s[44:45], v[166:167]
	s_delay_alu instid0(VALU_DEP_3) | instskip(SKIP_1) | instid1(VALU_DEP_3)
	v_add_f64_e32 v[182:183], v[184:185], v[182:183]
	v_mul_f64_e32 v[166:167], s[40:41], v[166:167]
	v_fma_f64 v[196:197], v[66:67], s[2:3], -v[194:195]
	v_fma_f64 v[184:185], v[66:67], s[2:3], v[194:195]
	s_delay_alu instid0(VALU_DEP_2) | instskip(SKIP_1) | instid1(VALU_DEP_3)
	v_add_f64_e32 v[180:181], v[196:197], v[180:181]
	v_mul_f64_e32 v[196:197], s[44:45], v[168:169]
	v_add_f64_e32 v[174:175], v[184:185], v[174:175]
	v_mul_f64_e32 v[168:169], s[40:41], v[168:169]
	s_delay_alu instid0(VALU_DEP_3) | instskip(SKIP_1) | instid1(VALU_DEP_2)
	v_fma_f64 v[198:199], v[74:75], s[2:3], v[196:197]
	v_fma_f64 v[184:185], v[74:75], s[2:3], -v[196:197]
	;; [unrolled: 15-line block ×3, first 2 shown]
	v_add_f64_e32 v[186:187], v[202:203], v[186:187]
	v_mul_f64_e32 v[202:203], s[22:23], v[176:177]
	s_delay_alu instid0(VALU_DEP_3) | instskip(SKIP_1) | instid1(VALU_DEP_3)
	v_add_f64_e32 v[182:183], v[184:185], v[182:183]
	v_mul_f64_e32 v[176:177], s[34:35], v[176:177]
	v_fma_f64 v[204:205], v[76:77], s[14:15], -v[202:203]
	v_fma_f64 v[184:185], v[76:77], s[14:15], v[202:203]
	s_delay_alu instid0(VALU_DEP_2) | instskip(SKIP_1) | instid1(VALU_DEP_3)
	v_add_f64_e32 v[206:207], v[204:205], v[180:181]
	v_mul_f64_e32 v[180:181], s[22:23], v[178:179]
	v_add_f64_e32 v[184:185], v[184:185], v[174:175]
	v_fma_f64 v[174:175], v[36:37], s[2:3], -v[82:83]
	v_fma_f64 v[82:83], v[36:37], s[2:3], v[82:83]
	v_mul_f64_e32 v[178:179], s[34:35], v[178:179]
	v_fma_f64 v[204:205], v[80:81], s[14:15], v[180:181]
	v_fma_f64 v[180:181], v[80:81], s[14:15], -v[180:181]
	v_add_f64_e32 v[174:175], v[0:1], v[174:175]
	v_add_f64_e32 v[82:83], v[0:1], v[82:83]
	s_delay_alu instid0(VALU_DEP_4) | instskip(NEXT) | instid1(VALU_DEP_4)
	v_add_f64_e32 v[208:209], v[204:205], v[186:187]
	v_add_f64_e32 v[186:187], v[180:181], v[182:183]
	v_fma_f64 v[180:181], v[40:41], s[20:21], -v[104:105]
	v_fma_f64 v[104:105], v[40:41], s[20:21], v[104:105]
	v_fma_f64 v[182:183], v[62:63], s[20:21], v[160:161]
	s_clause 0x1
	scratch_store_b128 off, v[206:209], off offset:120
	scratch_store_b128 off, v[184:187], off offset:136
	v_add_f64_e32 v[174:175], v[180:181], v[174:175]
	v_fma_f64 v[180:181], v[58:59], s[2:3], v[106:107]
	v_add_f64_e32 v[82:83], v[104:105], v[82:83]
	v_fma_f64 v[104:105], v[58:59], s[2:3], -v[106:107]
	v_fma_f64 v[106:107], v[62:63], s[20:21], -v[160:161]
	;; [unrolled: 1-line block ×3, first 2 shown]
	v_add_f64_e32 v[180:181], v[2:3], v[180:181]
	s_delay_alu instid0(VALU_DEP_4) | instskip(NEXT) | instid1(VALU_DEP_2)
	v_add_f64_e32 v[104:105], v[2:3], v[104:105]
	v_add_f64_e32 v[180:181], v[182:183], v[180:181]
	v_fma_f64 v[182:183], v[60:61], s[8:9], -v[162:163]
	s_delay_alu instid0(VALU_DEP_3) | instskip(SKIP_1) | instid1(VALU_DEP_3)
	v_add_f64_e32 v[104:105], v[106:107], v[104:105]
	v_fma_f64 v[106:107], v[60:61], s[8:9], v[162:163]
	v_add_f64_e32 v[174:175], v[182:183], v[174:175]
	v_fma_f64 v[182:183], v[70:71], s[8:9], v[164:165]
	s_delay_alu instid0(VALU_DEP_3) | instskip(SKIP_1) | instid1(VALU_DEP_3)
	v_add_f64_e32 v[82:83], v[106:107], v[82:83]
	v_fma_f64 v[106:107], v[70:71], s[8:9], -v[164:165]
	v_add_f64_e32 v[180:181], v[182:183], v[180:181]
	v_fma_f64 v[182:183], v[66:67], s[18:19], -v[166:167]
	s_delay_alu instid0(VALU_DEP_3) | instskip(SKIP_1) | instid1(VALU_DEP_3)
	v_add_f64_e32 v[104:105], v[106:107], v[104:105]
	v_fma_f64 v[106:107], v[66:67], s[18:19], v[166:167]
	v_add_f64_e32 v[174:175], v[182:183], v[174:175]
	v_fma_f64 v[182:183], v[74:75], s[18:19], v[168:169]
	s_delay_alu instid0(VALU_DEP_3) | instskip(SKIP_1) | instid1(VALU_DEP_3)
	v_add_f64_e32 v[82:83], v[106:107], v[82:83]
	v_fma_f64 v[106:107], v[74:75], s[18:19], -v[168:169]
	;; [unrolled: 10-line block ×3, first 2 shown]
	v_add_f64_e32 v[180:181], v[182:183], v[180:181]
	v_fma_f64 v[182:183], v[76:77], s[16:17], -v[176:177]
	s_delay_alu instid0(VALU_DEP_3) | instskip(SKIP_1) | instid1(VALU_DEP_3)
	v_add_f64_e32 v[104:105], v[106:107], v[104:105]
	v_fma_f64 v[106:107], v[76:77], s[16:17], v[176:177]
	v_add_f64_e32 v[182:183], v[182:183], v[174:175]
	v_fma_f64 v[174:175], v[80:81], s[16:17], v[178:179]
	s_delay_alu instid0(VALU_DEP_3) | instskip(SKIP_1) | instid1(VALU_DEP_3)
	v_add_f64_e32 v[162:163], v[106:107], v[82:83]
	v_add_f64_e32 v[164:165], v[160:161], v[104:105]
	v_add_f64_e32 v[184:185], v[174:175], v[180:181]
	s_clause 0x1
	scratch_store_b128 off, v[162:165], off offset:168
	scratch_store_b128 off, v[182:185], off offset:152
	global_wb scope:SCOPE_SE
	s_wait_storecnt 0x0
	s_wait_kmcnt 0x0
	s_barrier_signal -1
	s_barrier_wait -1
	global_inv scope:SCOPE_SE
	ds_store_b128 v65, v[140:143]
	ds_store_b128 v65, v[144:147] offset:16
	ds_store_b128 v65, v[152:155] offset:32
	;; [unrolled: 1-line block ×12, first 2 shown]
	v_add_co_u32 v8, s22, 0x75, v212
	s_wait_alu 0xf1ff
	v_add_co_ci_u32_e64 v9, null, 0, 0, s22
	s_delay_alu instid0(VALU_DEP_2)
	v_mul_u32_u24_e32 v9, 13, v8
	scratch_store_b32 off, v9, off offset:808 ; 4-byte Folded Spill
	s_and_saveexec_b32 s22, vcc_lo
	s_cbranch_execz .LBB0_7
; %bb.6:
	v_mul_f64_e32 v[9:10], s[20:21], v[58:59]
	v_mul_f64_e32 v[11:12], s[20:21], v[36:37]
	;; [unrolled: 1-line block ×4, first 2 shown]
	v_add_f64_e32 v[6:7], v[2:3], v[6:7]
	v_add_f64_e32 v[4:5], v[0:1], v[4:5]
	v_mul_f64_e32 v[17:18], s[16:17], v[60:61]
	v_mul_f64_e32 v[19:20], s[16:17], v[70:71]
	v_add_f64_e32 v[9:10], v[48:49], v[9:10]
	v_add_f64_e64 v[11:12], v[11:12], -v[32:33]
	v_add_f64_e32 v[13:14], v[44:45], v[13:14]
	v_add_f64_e64 v[15:16], v[15:16], -v[34:35]
	v_add_f64_e32 v[6:7], v[6:7], v[86:87]
	v_add_f64_e32 v[4:5], v[4:5], v[84:85]
	v_add_f64_e64 v[17:18], v[17:18], -v[38:39]
	v_add_f64_e32 v[19:20], v[50:51], v[19:20]
	v_add_f64_e32 v[2:3], v[2:3], v[9:10]
	;; [unrolled: 1-line block ×3, first 2 shown]
	v_mul_f64_e32 v[9:10], s[14:15], v[66:67]
	v_mul_f64_e32 v[11:12], s[14:15], v[74:75]
	v_add_f64_e32 v[6:7], v[6:7], v[90:91]
	v_add_f64_e32 v[4:5], v[4:5], v[88:89]
	;; [unrolled: 1-line block ×4, first 2 shown]
	v_mul_f64_e32 v[13:14], s[8:9], v[72:73]
	v_mul_f64_e32 v[15:16], s[8:9], v[78:79]
	v_add_f64_e32 v[11:12], v[52:53], v[11:12]
	v_add_f64_e64 v[9:10], v[9:10], -v[42:43]
	v_add_f64_e32 v[6:7], v[6:7], v[94:95]
	v_add_f64_e32 v[4:5], v[4:5], v[92:93]
	;; [unrolled: 1-line block ×4, first 2 shown]
	v_mul_f64_e32 v[17:18], s[2:3], v[76:77]
	v_mul_f64_e32 v[19:20], s[2:3], v[80:81]
	v_add_f64_e32 v[15:16], v[56:57], v[15:16]
	v_add_f64_e64 v[13:14], v[13:14], -v[46:47]
	v_add_f64_e32 v[6:7], v[6:7], v[110:111]
	v_add_f64_e32 v[4:5], v[4:5], v[108:109]
	;; [unrolled: 1-line block ×4, first 2 shown]
	v_add_f64_e64 v[11:12], v[17:18], -v[54:55]
	v_add_f64_e32 v[9:10], v[68:69], v[19:20]
	v_add_f64_e32 v[6:7], v[6:7], v[114:115]
	;; [unrolled: 1-line block ×5, first 2 shown]
	s_delay_alu instid0(VALU_DEP_4) | instskip(NEXT) | instid1(VALU_DEP_4)
	v_add_f64_e32 v[6:7], v[6:7], v[118:119]
	v_add_f64_e32 v[4:5], v[4:5], v[116:117]
	s_delay_alu instid0(VALU_DEP_4) | instskip(NEXT) | instid1(VALU_DEP_4)
	v_add_f64_e32 v[2:3], v[9:10], v[2:3]
	v_add_f64_e32 v[0:1], v[11:12], v[0:1]
	scratch_load_b128 v[10:13], off, off offset:56 ; 16-byte Folded Reload
	v_mul_u32_u24_e32 v9, 13, v8
	v_add_f64_e32 v[6:7], v[6:7], v[122:123]
	v_add_f64_e32 v[4:5], v[4:5], v[120:121]
	s_delay_alu instid0(VALU_DEP_3) | instskip(NEXT) | instid1(VALU_DEP_3)
	v_lshlrev_b32_e32 v9, 4, v9
	v_add_f64_e32 v[6:7], v[6:7], v[126:127]
	s_delay_alu instid0(VALU_DEP_3) | instskip(NEXT) | instid1(VALU_DEP_2)
	v_add_f64_e32 v[4:5], v[4:5], v[124:125]
	v_add_f64_e32 v[6:7], v[6:7], v[130:131]
	s_delay_alu instid0(VALU_DEP_2) | instskip(NEXT) | instid1(VALU_DEP_2)
	v_add_f64_e32 v[4:5], v[4:5], v[128:129]
	v_add_f64_e32 v[6:7], v[6:7], v[134:135]
	s_delay_alu instid0(VALU_DEP_2) | instskip(NEXT) | instid1(VALU_DEP_2)
	v_add_f64_e32 v[4:5], v[4:5], v[132:133]
	v_add_f64_e32 v[6:7], v[6:7], v[138:139]
	s_delay_alu instid0(VALU_DEP_2)
	v_add_f64_e32 v[4:5], v[4:5], v[136:137]
	s_wait_loadcnt 0x0
	ds_store_b128 v9, v[10:13] offset:32
	scratch_load_b128 v[10:13], off, off offset:72 ; 16-byte Folded Reload
	s_wait_loadcnt 0x0
	ds_store_b128 v9, v[10:13] offset:48
	scratch_load_b128 v[10:13], off, off offset:88 ; 16-byte Folded Reload
	;; [unrolled: 3-line block ×9, first 2 shown]
	s_wait_loadcnt 0x0
	ds_store_b128 v9, v[10:13] offset:176
	ds_store_b128 v9, v[4:7]
	ds_store_b128 v9, v[0:3] offset:16
	scratch_load_b128 v[0:3], off, off offset:8 ; 16-byte Folded Reload
	s_wait_loadcnt 0x0
	ds_store_b128 v9, v[0:3] offset:192
.LBB0_7:
	s_wait_alu 0xfffe
	s_or_b32 exec_lo, exec_lo, s22
	v_and_b32_e32 v0, 0xff, v212
	global_wb scope:SCOPE_SE
	s_wait_storecnt_dscnt 0x0
	s_barrier_signal -1
	s_barrier_wait -1
	global_inv scope:SCOPE_SE
	v_mul_lo_u16 v1, 0x4f, v0
	v_and_b32_e32 v5, 0xff, v8
	s_mov_b32 s2, 0xe8584caa
	s_mov_b32 s3, 0x3febb67a
	;; [unrolled: 1-line block ×3, first 2 shown]
	v_lshrrev_b16 v1, 10, v1
	s_wait_alu 0xfffe
	s_mov_b32 s8, s2
	v_mul_lo_u16 v0, 0xa5, v0
	s_mov_b32 s15, 0xbfee6f0e
	s_mov_b32 s16, 0x372fe950
	v_mul_lo_u16 v2, v1, 13
	v_and_b32_e32 v1, 0xffff, v1
	v_lshrrev_b16 v0, 8, v0
	s_mov_b32 s17, 0x3fd3c6ef
	s_delay_alu instid0(VALU_DEP_3) | instskip(NEXT) | instid1(VALU_DEP_3)
	v_sub_nc_u16 v2, v212, v2
	v_mul_u32_u24_e32 v1, 39, v1
	s_delay_alu instid0(VALU_DEP_2) | instskip(NEXT) | instid1(VALU_DEP_1)
	v_and_b32_e32 v2, 0xff, v2
	v_lshlrev_b32_e32 v3, 5, v2
	s_delay_alu instid0(VALU_DEP_3) | instskip(SKIP_4) | instid1(VALU_DEP_1)
	v_add_lshl_u32 v1, v1, v2, 4
	s_clause 0x1
	global_load_b128 v[49:52], v3, s[0:1]
	global_load_b128 v[41:44], v3, s[0:1] offset:16
	v_mul_lo_u16 v3, 0x4f, v5
	v_lshrrev_b16 v3, 10, v3
	s_delay_alu instid0(VALU_DEP_1) | instskip(NEXT) | instid1(VALU_DEP_1)
	v_mul_lo_u16 v4, v3, 13
	v_sub_nc_u16 v4, v8, v4
	s_delay_alu instid0(VALU_DEP_1) | instskip(SKIP_1) | instid1(VALU_DEP_2)
	v_and_b32_e32 v12, 0xff, v4
	v_add_co_u32 v4, null, 0xea, v212
	v_lshlrev_b32_e32 v7, 5, v12
	s_delay_alu instid0(VALU_DEP_2) | instskip(SKIP_4) | instid1(VALU_DEP_1)
	v_and_b32_e32 v6, 0xffff, v4
	s_clause 0x1
	global_load_b128 v[45:48], v7, s[0:1]
	global_load_b128 v[53:56], v7, s[0:1] offset:16
	v_mul_u32_u24_e32 v7, 0x4ec5, v6
	v_lshrrev_b32_e32 v63, 18, v7
	s_delay_alu instid0(VALU_DEP_1) | instskip(NEXT) | instid1(VALU_DEP_1)
	v_mul_lo_u16 v7, v63, 13
	v_sub_nc_u16 v80, v4, v7
	s_delay_alu instid0(VALU_DEP_1) | instskip(NEXT) | instid1(VALU_DEP_1)
	v_lshlrev_b16 v7, 1, v80
	v_and_b32_e32 v7, 0xffff, v7
	s_delay_alu instid0(VALU_DEP_1)
	v_lshlrev_b32_e32 v7, 4, v7
	s_clause 0x1
	global_load_b128 v[57:60], v7, s[0:1]
	global_load_b128 v[66:69], v7, s[0:1] offset:16
	ds_load_b128 v[13:16], v64 offset:9360
	ds_load_b128 v[17:20], v64 offset:18720
	;; [unrolled: 1-line block ×5, first 2 shown]
	v_add_nc_u32_e32 v7, 0x15f, v212
	s_wait_loadcnt_dscnt 0x504
	v_mul_f64_e32 v[9:10], v[15:16], v[51:52]
	v_mul_f64_e32 v[33:34], v[13:14], v[51:52]
	s_wait_loadcnt_dscnt 0x403
	v_mul_f64_e32 v[35:36], v[19:20], v[43:44]
	v_mul_f64_e32 v[37:38], v[17:18], v[43:44]
	s_clause 0x1
	scratch_store_b128 off, v[41:44], off offset:404
	scratch_store_b128 off, v[49:52], off offset:436
	s_wait_loadcnt 0x3
	scratch_store_b128 off, v[45:48], off offset:420 ; 16-byte Folded Spill
	s_wait_loadcnt 0x2
	scratch_store_b128 off, v[53:56], off offset:468 ; 16-byte Folded Spill
	v_fma_f64 v[39:40], v[13:14], v[49:50], -v[9:10]
	v_fma_f64 v[33:34], v[15:16], v[49:50], v[33:34]
	ds_load_b128 v[13:16], v64 offset:13104
	v_fma_f64 v[35:36], v[17:18], v[41:42], -v[35:36]
	s_wait_dscnt 0x2
	v_mul_f64_e32 v[9:10], v[31:32], v[47:48]
	v_mul_f64_e32 v[17:18], v[29:30], v[47:48]
	v_fma_f64 v[37:38], v[19:20], v[41:42], v[37:38]
	s_wait_loadcnt 0x1
	scratch_store_b128 off, v[57:60], off offset:484 ; 16-byte Folded Spill
	v_fma_f64 v[41:42], v[29:30], v[45:46], -v[9:10]
	v_fma_f64 v[43:44], v[31:32], v[45:46], v[17:18]
	s_wait_dscnt 0x1
	v_mul_f64_e32 v[9:10], v[27:28], v[55:56]
	v_mul_f64_e32 v[17:18], v[25:26], v[55:56]
	s_delay_alu instid0(VALU_DEP_2) | instskip(NEXT) | instid1(VALU_DEP_2)
	v_fma_f64 v[45:46], v[25:26], v[53:54], -v[9:10]
	v_fma_f64 v[47:48], v[27:28], v[53:54], v[17:18]
	s_wait_dscnt 0x0
	v_mul_f64_e32 v[9:10], v[15:16], v[59:60]
	v_mul_f64_e32 v[17:18], v[13:14], v[59:60]
	s_delay_alu instid0(VALU_DEP_2) | instskip(NEXT) | instid1(VALU_DEP_2)
	v_fma_f64 v[49:50], v[13:14], v[57:58], -v[9:10]
	v_fma_f64 v[51:52], v[15:16], v[57:58], v[17:18]
	ds_load_b128 v[13:16], v64 offset:22464
	ds_load_b128 v[17:20], v64 offset:24336
	s_wait_loadcnt 0x0
	scratch_store_b128 off, v[66:69], off offset:500 ; 16-byte Folded Spill
	s_wait_dscnt 0x1
	v_mul_f64_e32 v[9:10], v[15:16], v[68:69]
	s_delay_alu instid0(VALU_DEP_1) | instskip(SKIP_1) | instid1(VALU_DEP_1)
	v_fma_f64 v[53:54], v[13:14], v[66:67], -v[9:10]
	v_mul_f64_e32 v[9:10], v[13:14], v[68:69]
	v_fma_f64 v[55:56], v[15:16], v[66:67], v[9:10]
	v_and_b32_e32 v10, 0xffff, v7
	s_delay_alu instid0(VALU_DEP_1) | instskip(NEXT) | instid1(VALU_DEP_1)
	v_mul_u32_u24_e32 v9, 0x4ec5, v10
	v_lshrrev_b32_e32 v81, 18, v9
	s_delay_alu instid0(VALU_DEP_1) | instskip(NEXT) | instid1(VALU_DEP_1)
	v_mul_lo_u16 v9, v81, 13
	v_sub_nc_u16 v82, v7, v9
	s_delay_alu instid0(VALU_DEP_1) | instskip(NEXT) | instid1(VALU_DEP_1)
	v_lshlrev_b16 v9, 1, v82
	v_and_b32_e32 v9, 0xffff, v9
	s_delay_alu instid0(VALU_DEP_1)
	v_lshlrev_b32_e32 v9, 4, v9
	s_clause 0x1
	global_load_b128 v[59:62], v9, s[0:1]
	global_load_b128 v[66:69], v9, s[0:1] offset:16
	ds_load_b128 v[13:16], v64 offset:14976
	ds_load_b128 v[25:28], v64 offset:16848
	v_add_nc_u32_e32 v9, 0x1d4, v212
	v_add_f64_e32 v[78:79], v[51:52], v[55:56]
	s_delay_alu instid0(VALU_DEP_2)
	v_and_b32_e32 v11, 0xffff, v9
	s_wait_loadcnt_dscnt 0x101
	v_mul_f64_e32 v[29:30], v[15:16], v[61:62]
	scratch_store_b128 off, v[59:62], off offset:584 ; 16-byte Folded Spill
	s_wait_loadcnt 0x0
	scratch_store_b128 off, v[66:69], off offset:568 ; 16-byte Folded Spill
	v_fma_f64 v[57:58], v[13:14], v[59:60], -v[29:30]
	v_mul_f64_e32 v[13:14], v[13:14], v[61:62]
	s_delay_alu instid0(VALU_DEP_1) | instskip(SKIP_1) | instid1(VALU_DEP_1)
	v_fma_f64 v[59:60], v[15:16], v[59:60], v[13:14]
	v_mul_f64_e32 v[13:14], v[19:20], v[68:69]
	v_fma_f64 v[61:62], v[17:18], v[66:67], -v[13:14]
	v_mul_f64_e32 v[13:14], v[17:18], v[68:69]
	v_add_f64_e32 v[68:69], v[49:50], v[53:54]
	s_delay_alu instid0(VALU_DEP_2) | instskip(SKIP_1) | instid1(VALU_DEP_1)
	v_fma_f64 v[66:67], v[19:20], v[66:67], v[13:14]
	v_mul_u32_u24_e32 v13, 0x4ec5, v11
	v_lshrrev_b32_e32 v83, 18, v13
	s_delay_alu instid0(VALU_DEP_1) | instskip(NEXT) | instid1(VALU_DEP_1)
	v_mul_lo_u16 v13, v83, 13
	v_sub_nc_u16 v84, v9, v13
	s_delay_alu instid0(VALU_DEP_1) | instskip(NEXT) | instid1(VALU_DEP_1)
	v_lshlrev_b16 v13, 1, v84
	v_and_b32_e32 v13, 0xffff, v13
	s_delay_alu instid0(VALU_DEP_1)
	v_lshlrev_b32_e32 v13, 4, v13
	s_clause 0x1
	global_load_b128 v[15:18], v13, s[0:1]
	global_load_b128 v[29:32], v13, s[0:1] offset:16
	s_wait_loadcnt_dscnt 0x100
	v_mul_f64_e32 v[13:14], v[27:28], v[17:18]
	scratch_store_b128 off, v[15:18], off offset:600 ; 16-byte Folded Spill
	s_wait_loadcnt 0x0
	scratch_store_b128 off, v[29:32], off offset:552 ; 16-byte Folded Spill
	v_fma_f64 v[70:71], v[25:26], v[15:16], -v[13:14]
	v_mul_f64_e32 v[13:14], v[25:26], v[17:18]
	v_add_f64_e32 v[25:26], v[39:40], v[35:36]
	s_delay_alu instid0(VALU_DEP_2) | instskip(SKIP_3) | instid1(VALU_DEP_1)
	v_fma_f64 v[72:73], v[27:28], v[15:16], v[13:14]
	ds_load_b128 v[13:16], v64 offset:26208
	s_wait_dscnt 0x0
	v_mul_f64_e32 v[17:18], v[15:16], v[31:32]
	v_fma_f64 v[74:75], v[13:14], v[29:30], -v[17:18]
	v_mul_f64_e32 v[13:14], v[13:14], v[31:32]
	s_delay_alu instid0(VALU_DEP_1)
	v_fma_f64 v[76:77], v[15:16], v[29:30], v[13:14]
	ds_load_b128 v[13:16], v64
	ds_load_b128 v[17:20], v64 offset:1872
	v_add_f64_e64 v[29:30], v[33:34], -v[37:38]
	s_wait_dscnt 0x1
	v_fma_f64 v[27:28], v[25:26], -0.5, v[13:14]
	v_add_f64_e32 v[25:26], v[33:34], v[37:38]
	v_add_f64_e32 v[13:14], v[13:14], v[39:40]
	s_delay_alu instid0(VALU_DEP_2)
	v_fma_f64 v[31:32], v[25:26], -0.5, v[15:16]
	v_add_f64_e32 v[15:16], v[15:16], v[33:34]
	v_add_f64_e64 v[33:34], v[39:40], -v[35:36]
	v_fma_f64 v[25:26], v[29:30], s[2:3], v[27:28]
	s_wait_alu 0xfffe
	v_fma_f64 v[29:30], v[29:30], s[8:9], v[27:28]
	v_add_f64_e32 v[13:14], v[13:14], v[35:36]
	v_add_f64_e32 v[15:16], v[15:16], v[37:38]
	v_fma_f64 v[27:28], v[33:34], s[8:9], v[31:32]
	v_fma_f64 v[31:32], v[33:34], s[2:3], v[31:32]
	v_add_f64_e32 v[33:34], v[41:42], v[45:46]
	v_add_f64_e64 v[37:38], v[43:44], -v[47:48]
	s_wait_dscnt 0x0
	s_delay_alu instid0(VALU_DEP_2) | instskip(SKIP_3) | instid1(VALU_DEP_3)
	v_fma_f64 v[35:36], v[33:34], -0.5, v[17:18]
	v_add_f64_e32 v[33:34], v[43:44], v[47:48]
	v_add_f64_e32 v[17:18], v[17:18], v[41:42]
	v_add_f64_e64 v[41:42], v[41:42], -v[45:46]
	v_fma_f64 v[39:40], v[33:34], -0.5, v[19:20]
	v_add_f64_e32 v[19:20], v[19:20], v[43:44]
	s_delay_alu instid0(VALU_DEP_4)
	v_add_f64_e32 v[17:18], v[17:18], v[45:46]
	v_fma_f64 v[33:34], v[37:38], s[2:3], v[35:36]
	v_fma_f64 v[37:38], v[37:38], s[8:9], v[35:36]
	;; [unrolled: 1-line block ×3, first 2 shown]
	v_add_f64_e32 v[19:20], v[19:20], v[47:48]
	v_fma_f64 v[39:40], v[41:42], s[2:3], v[39:40]
	ds_load_b128 v[41:44], v64 offset:3744
	ds_load_b128 v[45:48], v64 offset:5616
	global_wb scope:SCOPE_SE
	s_wait_storecnt_dscnt 0x0
	s_barrier_signal -1
	s_barrier_wait -1
	global_inv scope:SCOPE_SE
	ds_store_b128 v1, v[13:16]
	ds_store_b128 v1, v[25:28] offset:208
	scratch_store_b32 off, v1, off offset:548 ; 4-byte Folded Spill
	ds_store_b128 v1, v[29:32] offset:416
	v_and_b32_e32 v1, 0xffff, v3
	s_delay_alu instid0(VALU_DEP_1) | instskip(NEXT) | instid1(VALU_DEP_1)
	v_mul_u32_u24_e32 v1, 39, v1
	v_add_lshl_u32 v1, v1, v12, 4
	v_fma_f64 v[68:69], v[68:69], -0.5, v[41:42]
	v_fma_f64 v[78:79], v[78:79], -0.5, v[43:44]
	v_add_f64_e32 v[43:44], v[43:44], v[51:52]
	v_add_f64_e32 v[41:42], v[41:42], v[49:50]
	v_add_f64_e64 v[51:52], v[51:52], -v[55:56]
	ds_store_b128 v1, v[17:20]
	ds_store_b128 v1, v[33:36] offset:208
	scratch_store_b32 off, v1, off offset:544 ; 4-byte Folded Spill
	ds_store_b128 v1, v[37:40] offset:416
	v_mad_u16 v1, v63, 39, v80
	s_delay_alu instid0(VALU_DEP_1) | instskip(NEXT) | instid1(VALU_DEP_1)
	v_and_b32_e32 v1, 0xffff, v1
	v_lshlrev_b32_e32 v1, 4, v1
	v_add_f64_e32 v[43:44], v[43:44], v[55:56]
	v_add_f64_e32 v[41:42], v[41:42], v[53:54]
	v_add_f64_e64 v[55:56], v[49:50], -v[53:54]
	v_fma_f64 v[49:50], v[51:52], s[2:3], v[68:69]
	v_fma_f64 v[53:54], v[51:52], s[8:9], v[68:69]
	v_add_f64_e32 v[68:69], v[57:58], v[61:62]
	s_delay_alu instid0(VALU_DEP_4) | instskip(SKIP_2) | instid1(VALU_DEP_4)
	v_fma_f64 v[51:52], v[55:56], s[8:9], v[78:79]
	v_fma_f64 v[55:56], v[55:56], s[2:3], v[78:79]
	v_add_f64_e32 v[78:79], v[59:60], v[66:67]
	v_fma_f64 v[68:69], v[68:69], -0.5, v[45:46]
	v_add_f64_e32 v[45:46], v[45:46], v[57:58]
	ds_store_b128 v1, v[41:44]
	ds_store_b128 v1, v[49:52] offset:208
	scratch_store_b32 off, v1, off offset:540 ; 4-byte Folded Spill
	ds_store_b128 v1, v[53:56] offset:416
	v_fma_f64 v[78:79], v[78:79], -0.5, v[47:48]
	v_add_f64_e32 v[47:48], v[47:48], v[59:60]
	v_add_f64_e64 v[59:60], v[59:60], -v[66:67]
	v_add_f64_e32 v[45:46], v[45:46], v[61:62]
	v_add_f64_e64 v[61:62], v[57:58], -v[61:62]
	v_mad_u16 v1, v81, 39, v82
	s_delay_alu instid0(VALU_DEP_1) | instskip(NEXT) | instid1(VALU_DEP_1)
	v_and_b32_e32 v1, 0xffff, v1
	v_lshlrev_b32_e32 v1, 4, v1
	v_add_f64_e32 v[47:48], v[47:48], v[66:67]
	v_fma_f64 v[57:58], v[59:60], s[2:3], v[68:69]
	v_fma_f64 v[66:67], v[59:60], s[8:9], v[68:69]
	;; [unrolled: 1-line block ×4, first 2 shown]
	v_add_f64_e32 v[78:79], v[72:73], v[76:77]
	v_add_f64_e32 v[61:62], v[70:71], v[74:75]
	ds_store_b128 v1, v[45:48]
	ds_store_b128 v1, v[57:60] offset:208
	scratch_store_b32 off, v1, off offset:536 ; 4-byte Folded Spill
	ds_store_b128 v1, v[66:69] offset:416
	v_fma_f64 v[78:79], v[78:79], -0.5, v[23:24]
	v_add_f64_e32 v[23:24], v[23:24], v[72:73]
	v_fma_f64 v[61:62], v[61:62], -0.5, v[21:22]
	v_add_f64_e32 v[21:22], v[21:22], v[70:71]
	v_add_f64_e64 v[72:73], v[72:73], -v[76:77]
	v_mad_u16 v1, v83, 39, v84
	s_delay_alu instid0(VALU_DEP_1) | instskip(NEXT) | instid1(VALU_DEP_1)
	v_and_b32_e32 v1, 0xffff, v1
	v_lshlrev_b32_e32 v2, 4, v1
	v_sub_nc_u16 v1, v212, v0
	scratch_store_b32 off, v2, off offset:532 ; 4-byte Folded Spill
	v_lshrrev_b16 v1, 1, v1
	s_delay_alu instid0(VALU_DEP_1) | instskip(NEXT) | instid1(VALU_DEP_1)
	v_and_b32_e32 v1, 0x7f, v1
	v_add_nc_u16 v0, v1, v0
	s_delay_alu instid0(VALU_DEP_1)
	v_lshrrev_b16 v0, 5, v0
	v_add_f64_e32 v[23:24], v[23:24], v[76:77]
	v_add_f64_e64 v[76:77], v[70:71], -v[74:75]
	v_add_f64_e32 v[21:22], v[21:22], v[74:75]
	v_fma_f64 v[70:71], v[72:73], s[2:3], v[61:62]
	v_fma_f64 v[74:75], v[72:73], s[8:9], v[61:62]
	v_and_b32_e32 v13, 7, v0
	s_delay_alu instid0(VALU_DEP_1) | instskip(SKIP_1) | instid1(VALU_DEP_2)
	v_mul_lo_u16 v0, v13, 39
	v_and_b32_e32 v13, 0xffff, v13
	v_sub_nc_u16 v0, v212, v0
	s_delay_alu instid0(VALU_DEP_2) | instskip(NEXT) | instid1(VALU_DEP_2)
	v_mul_u32_u24_e32 v13, 0x75, v13
	v_and_b32_e32 v12, 0xff, v0
	s_delay_alu instid0(VALU_DEP_1) | instskip(NEXT) | instid1(VALU_DEP_3)
	v_lshlrev_b32_e32 v0, 5, v12
	v_add_lshl_u32 v12, v13, v12, 4
	v_fma_f64 v[72:73], v[76:77], s[8:9], v[78:79]
	v_fma_f64 v[76:77], v[76:77], s[2:3], v[78:79]
	ds_store_b128 v2, v[21:24]
	ds_store_b128 v2, v[70:73] offset:208
	ds_store_b128 v2, v[74:77] offset:416
	global_wb scope:SCOPE_SE
	s_wait_storecnt_dscnt 0x0
	s_barrier_signal -1
	s_barrier_wait -1
	global_inv scope:SCOPE_SE
	s_clause 0x1
	global_load_b128 v[20:23], v0, s[0:1] offset:416
	global_load_b128 v[32:35], v0, s[0:1] offset:432
	ds_load_b128 v[0:3], v64 offset:9360
	ds_load_b128 v[14:17], v64 offset:7488
	s_wait_loadcnt_dscnt 0x101
	v_mul_f64_e32 v[18:19], v[2:3], v[22:23]
	scratch_store_b128 off, v[20:23], off offset:452 ; 16-byte Folded Spill
	v_fma_f64 v[26:27], v[0:1], v[20:21], -v[18:19]
	v_mul_f64_e32 v[0:1], v[0:1], v[22:23]
	s_delay_alu instid0(VALU_DEP_1)
	v_fma_f64 v[28:29], v[2:3], v[20:21], v[0:1]
	ds_load_b128 v[0:3], v64 offset:18720
	ds_load_b128 v[18:21], v64 offset:20592
	s_wait_loadcnt 0x0
	scratch_store_b128 off, v[32:35], off offset:516 ; 16-byte Folded Spill
	s_wait_dscnt 0x1
	v_mul_f64_e32 v[22:23], v[2:3], v[34:35]
	s_delay_alu instid0(VALU_DEP_1) | instskip(SKIP_1) | instid1(VALU_DEP_1)
	v_fma_f64 v[30:31], v[0:1], v[32:33], -v[22:23]
	v_mul_f64_e32 v[0:1], v[0:1], v[34:35]
	v_fma_f64 v[32:33], v[2:3], v[32:33], v[0:1]
	v_mul_lo_u16 v0, 0xa5, v5
	s_delay_alu instid0(VALU_DEP_1) | instskip(NEXT) | instid1(VALU_DEP_1)
	v_lshrrev_b16 v0, 8, v0
	v_sub_nc_u16 v1, v8, v0
	s_delay_alu instid0(VALU_DEP_1) | instskip(NEXT) | instid1(VALU_DEP_1)
	v_lshrrev_b16 v1, 1, v1
	v_and_b32_e32 v1, 0x7f, v1
	s_delay_alu instid0(VALU_DEP_1) | instskip(NEXT) | instid1(VALU_DEP_1)
	v_add_nc_u16 v0, v1, v0
	v_lshrrev_b16 v0, 5, v0
	s_delay_alu instid0(VALU_DEP_1) | instskip(NEXT) | instid1(VALU_DEP_1)
	v_and_b32_e32 v5, 7, v0
	v_mul_lo_u16 v0, v5, 39
	s_delay_alu instid0(VALU_DEP_1) | instskip(NEXT) | instid1(VALU_DEP_1)
	v_sub_nc_u16 v0, v8, v0
	v_and_b32_e32 v78, 0xff, v0
	s_delay_alu instid0(VALU_DEP_1)
	v_lshlrev_b32_e32 v0, 5, v78
	s_clause 0x1
	global_load_b128 v[36:39], v0, s[0:1] offset:416
	global_load_b128 v[40:43], v0, s[0:1] offset:432
	ds_load_b128 v[0:3], v64 offset:11232
	ds_load_b128 v[22:25], v64 offset:13104
	s_wait_loadcnt_dscnt 0x101
	v_mul_f64_e32 v[34:35], v[2:3], v[38:39]
	scratch_store_b128 off, v[36:39], off offset:652 ; 16-byte Folded Spill
	s_wait_loadcnt 0x0
	scratch_store_b128 off, v[40:43], off offset:636 ; 16-byte Folded Spill
	v_fma_f64 v[34:35], v[0:1], v[36:37], -v[34:35]
	v_mul_f64_e32 v[0:1], v[0:1], v[38:39]
	s_delay_alu instid0(VALU_DEP_1) | instskip(SKIP_1) | instid1(VALU_DEP_1)
	v_fma_f64 v[36:37], v[2:3], v[36:37], v[0:1]
	v_mul_f64_e32 v[0:1], v[20:21], v[42:43]
	v_fma_f64 v[38:39], v[18:19], v[40:41], -v[0:1]
	v_mul_f64_e32 v[0:1], v[18:19], v[42:43]
	s_delay_alu instid0(VALU_DEP_1) | instskip(SKIP_1) | instid1(VALU_DEP_1)
	v_fma_f64 v[40:41], v[20:21], v[40:41], v[0:1]
	v_mul_u32_u24_e32 v0, 0xa41b, v6
	v_lshrrev_b32_e32 v0, 16, v0
	s_delay_alu instid0(VALU_DEP_1) | instskip(NEXT) | instid1(VALU_DEP_1)
	v_sub_nc_u16 v1, v4, v0
	v_lshrrev_b16 v1, 1, v1
	s_delay_alu instid0(VALU_DEP_1) | instskip(NEXT) | instid1(VALU_DEP_1)
	v_add_nc_u16 v0, v1, v0
	v_lshrrev_b16 v79, 5, v0
	s_delay_alu instid0(VALU_DEP_1) | instskip(NEXT) | instid1(VALU_DEP_1)
	v_mul_lo_u16 v0, v79, 39
	v_sub_nc_u16 v80, v4, v0
	s_delay_alu instid0(VALU_DEP_1) | instskip(NEXT) | instid1(VALU_DEP_1)
	v_lshlrev_b16 v0, 5, v80
	v_and_b32_e32 v0, 0xffff, v0
	s_delay_alu instid0(VALU_DEP_1)
	v_add_co_u32 v0, s14, s0, v0
	s_wait_alu 0xf1ff
	v_add_co_ci_u32_e64 v1, null, s1, 0, s14
	s_clause 0x1
	global_load_b128 v[18:21], v[0:1], off offset:416
	global_load_b128 v[42:45], v[0:1], off offset:432
	s_wait_loadcnt_dscnt 0x100
	v_mul_f64_e32 v[0:1], v[24:25], v[20:21]
	scratch_store_b128 off, v[18:21], off offset:684 ; 16-byte Folded Spill
	v_fma_f64 v[46:47], v[22:23], v[18:19], -v[0:1]
	v_mul_f64_e32 v[0:1], v[22:23], v[20:21]
	s_delay_alu instid0(VALU_DEP_1)
	v_fma_f64 v[48:49], v[24:25], v[18:19], v[0:1]
	ds_load_b128 v[0:3], v64 offset:22464
	ds_load_b128 v[18:21], v64 offset:24336
	s_wait_loadcnt 0x0
	scratch_store_b128 off, v[42:45], off offset:668 ; 16-byte Folded Spill
	s_wait_dscnt 0x1
	v_mul_f64_e32 v[22:23], v[2:3], v[44:45]
	s_delay_alu instid0(VALU_DEP_1) | instskip(SKIP_1) | instid1(VALU_DEP_2)
	v_fma_f64 v[50:51], v[0:1], v[42:43], -v[22:23]
	v_mul_f64_e32 v[0:1], v[0:1], v[44:45]
	v_add_f64_e32 v[72:73], v[46:47], v[50:51]
	s_delay_alu instid0(VALU_DEP_2) | instskip(SKIP_1) | instid1(VALU_DEP_1)
	v_fma_f64 v[52:53], v[2:3], v[42:43], v[0:1]
	v_mul_u32_u24_e32 v0, 0xa41b, v10
	v_lshrrev_b32_e32 v0, 16, v0
	s_delay_alu instid0(VALU_DEP_1) | instskip(NEXT) | instid1(VALU_DEP_1)
	v_sub_nc_u16 v1, v7, v0
	v_lshrrev_b16 v1, 1, v1
	s_delay_alu instid0(VALU_DEP_1) | instskip(NEXT) | instid1(VALU_DEP_1)
	v_add_nc_u16 v0, v1, v0
	v_lshrrev_b16 v81, 5, v0
	s_delay_alu instid0(VALU_DEP_1) | instskip(NEXT) | instid1(VALU_DEP_1)
	v_mul_lo_u16 v0, v81, 39
	v_sub_nc_u16 v82, v7, v0
	v_add_f64_e32 v[74:75], v[48:49], v[52:53]
	s_delay_alu instid0(VALU_DEP_2) | instskip(NEXT) | instid1(VALU_DEP_1)
	v_lshlrev_b16 v0, 5, v82
	v_and_b32_e32 v0, 0xffff, v0
	s_delay_alu instid0(VALU_DEP_1)
	v_add_co_u32 v0, s14, s0, v0
	s_wait_alu 0xf1ff
	v_add_co_ci_u32_e64 v1, null, s1, 0, s14
	s_clause 0x1
	global_load_b128 v[56:59], v[0:1], off offset:416
	global_load_b128 v[60:63], v[0:1], off offset:432
	ds_load_b128 v[0:3], v64 offset:14976
	ds_load_b128 v[22:25], v64 offset:16848
	s_wait_loadcnt_dscnt 0x101
	v_mul_f64_e32 v[42:43], v[2:3], v[58:59]
	scratch_store_b128 off, v[56:59], off offset:716 ; 16-byte Folded Spill
	s_wait_loadcnt 0x0
	scratch_store_b128 off, v[60:63], off offset:700 ; 16-byte Folded Spill
	v_fma_f64 v[54:55], v[0:1], v[56:57], -v[42:43]
	v_mul_f64_e32 v[0:1], v[0:1], v[58:59]
	s_delay_alu instid0(VALU_DEP_1) | instskip(SKIP_1) | instid1(VALU_DEP_1)
	v_fma_f64 v[56:57], v[2:3], v[56:57], v[0:1]
	v_mul_f64_e32 v[0:1], v[20:21], v[62:63]
	v_fma_f64 v[58:59], v[18:19], v[60:61], -v[0:1]
	v_mul_f64_e32 v[0:1], v[18:19], v[62:63]
	s_delay_alu instid0(VALU_DEP_1) | instskip(SKIP_1) | instid1(VALU_DEP_1)
	v_fma_f64 v[60:61], v[20:21], v[60:61], v[0:1]
	v_mul_u32_u24_e32 v0, 0xa41b, v11
	v_lshrrev_b32_e32 v0, 16, v0
	s_delay_alu instid0(VALU_DEP_1) | instskip(NEXT) | instid1(VALU_DEP_1)
	v_sub_nc_u16 v1, v9, v0
	v_lshrrev_b16 v1, 1, v1
	s_delay_alu instid0(VALU_DEP_1) | instskip(NEXT) | instid1(VALU_DEP_1)
	v_add_nc_u16 v0, v1, v0
	v_lshrrev_b16 v83, 5, v0
	s_delay_alu instid0(VALU_DEP_1) | instskip(NEXT) | instid1(VALU_DEP_1)
	v_mul_lo_u16 v0, v83, 39
	v_sub_nc_u16 v84, v9, v0
	s_delay_alu instid0(VALU_DEP_1) | instskip(NEXT) | instid1(VALU_DEP_1)
	v_lshlrev_b16 v0, 5, v84
	v_and_b32_e32 v0, 0xffff, v0
	s_delay_alu instid0(VALU_DEP_1)
	v_add_co_u32 v0, s14, s0, v0
	s_wait_alu 0xf1ff
	v_add_co_ci_u32_e64 v1, null, s1, 0, s14
	s_clause 0x1
	global_load_b128 v[18:21], v[0:1], off offset:416
	global_load_b128 v[42:45], v[0:1], off offset:432
	s_wait_loadcnt_dscnt 0x100
	v_mul_f64_e32 v[0:1], v[24:25], v[20:21]
	scratch_store_b128 off, v[18:21], off offset:748 ; 16-byte Folded Spill
	s_wait_loadcnt 0x0
	scratch_store_b128 off, v[42:45], off offset:732 ; 16-byte Folded Spill
	v_fma_f64 v[62:63], v[22:23], v[18:19], -v[0:1]
	v_mul_f64_e32 v[0:1], v[22:23], v[20:21]
	v_add_f64_e32 v[22:23], v[26:27], v[30:31]
	s_delay_alu instid0(VALU_DEP_2) | instskip(SKIP_3) | instid1(VALU_DEP_1)
	v_fma_f64 v[66:67], v[24:25], v[18:19], v[0:1]
	ds_load_b128 v[0:3], v64 offset:26208
	s_wait_dscnt 0x0
	v_mul_f64_e32 v[18:19], v[2:3], v[44:45]
	v_fma_f64 v[68:69], v[0:1], v[42:43], -v[18:19]
	v_mul_f64_e32 v[0:1], v[0:1], v[44:45]
	s_delay_alu instid0(VALU_DEP_1)
	v_fma_f64 v[70:71], v[2:3], v[42:43], v[0:1]
	ds_load_b128 v[0:3], v64
	ds_load_b128 v[18:21], v64 offset:1872
	s_wait_dscnt 0x1
	v_fma_f64 v[24:25], v[22:23], -0.5, v[0:1]
	v_add_f64_e32 v[22:23], v[28:29], v[32:33]
	v_add_f64_e32 v[0:1], v[0:1], v[26:27]
	v_add_f64_e64 v[76:77], v[66:67], -v[70:71]
	s_delay_alu instid0(VALU_DEP_3) | instskip(SKIP_4) | instid1(VALU_DEP_4)
	v_fma_f64 v[42:43], v[22:23], -0.5, v[2:3]
	v_add_f64_e32 v[2:3], v[2:3], v[28:29]
	v_add_f64_e64 v[28:29], v[28:29], -v[32:33]
	v_add_f64_e32 v[0:1], v[0:1], v[30:31]
	v_add_f64_e64 v[30:31], v[26:27], -v[30:31]
	v_add_f64_e32 v[2:3], v[2:3], v[32:33]
	s_delay_alu instid0(VALU_DEP_4) | instskip(SKIP_1) | instid1(VALU_DEP_4)
	v_fma_f64 v[22:23], v[28:29], s[2:3], v[24:25]
	v_fma_f64 v[26:27], v[28:29], s[8:9], v[24:25]
	v_fma_f64 v[24:25], v[30:31], s[8:9], v[42:43]
	v_fma_f64 v[28:29], v[30:31], s[2:3], v[42:43]
	v_add_f64_e32 v[30:31], v[34:35], v[38:39]
	s_wait_dscnt 0x0
	s_delay_alu instid0(VALU_DEP_1) | instskip(SKIP_2) | instid1(VALU_DEP_2)
	v_fma_f64 v[32:33], v[30:31], -0.5, v[18:19]
	v_add_f64_e32 v[30:31], v[36:37], v[40:41]
	v_add_f64_e32 v[18:19], v[18:19], v[34:35]
	v_fma_f64 v[42:43], v[30:31], -0.5, v[20:21]
	v_add_f64_e32 v[20:21], v[20:21], v[36:37]
	v_add_f64_e64 v[36:37], v[36:37], -v[40:41]
	s_delay_alu instid0(VALU_DEP_4) | instskip(SKIP_1) | instid1(VALU_DEP_4)
	v_add_f64_e32 v[18:19], v[18:19], v[38:39]
	v_add_f64_e64 v[38:39], v[34:35], -v[38:39]
	v_add_f64_e32 v[20:21], v[20:21], v[40:41]
	s_delay_alu instid0(VALU_DEP_4) | instskip(SKIP_1) | instid1(VALU_DEP_4)
	v_fma_f64 v[30:31], v[36:37], s[2:3], v[32:33]
	v_fma_f64 v[34:35], v[36:37], s[8:9], v[32:33]
	;; [unrolled: 1-line block ×4, first 2 shown]
	ds_load_b128 v[38:41], v64 offset:3744
	ds_load_b128 v[42:45], v64 offset:5616
	global_wb scope:SCOPE_SE
	s_wait_storecnt_dscnt 0x0
	s_barrier_signal -1
	s_barrier_wait -1
	global_inv scope:SCOPE_SE
	ds_store_b128 v12, v[0:3]
	ds_store_b128 v12, v[22:25] offset:624
	v_and_b32_e32 v0, 0xffff, v5
	scratch_store_b32 off, v12, off offset:632 ; 4-byte Folded Spill
	ds_store_b128 v12, v[26:29] offset:1248
	v_mul_u32_u24_e32 v0, 0x75, v0
	s_delay_alu instid0(VALU_DEP_1)
	v_add_lshl_u32 v0, v0, v78, 4
	ds_store_b128 v0, v[18:21]
	ds_store_b128 v0, v[30:33] offset:624
	v_fma_f64 v[74:75], v[74:75], -0.5, v[40:41]
	v_add_f64_e32 v[40:41], v[40:41], v[48:49]
	v_fma_f64 v[72:73], v[72:73], -0.5, v[38:39]
	v_add_f64_e32 v[38:39], v[38:39], v[46:47]
	v_add_f64_e64 v[48:49], v[48:49], -v[52:53]
	scratch_store_b32 off, v0, off offset:628 ; 4-byte Folded Spill
	ds_store_b128 v0, v[34:37] offset:1248
	v_mad_u16 v0, 0x75, v79, v80
	s_delay_alu instid0(VALU_DEP_1) | instskip(NEXT) | instid1(VALU_DEP_1)
	v_and_b32_e32 v0, 0xffff, v0
	v_lshlrev_b32_e32 v0, 4, v0
	v_add_f64_e32 v[40:41], v[40:41], v[52:53]
	v_add_f64_e64 v[52:53], v[46:47], -v[50:51]
	v_add_f64_e32 v[38:39], v[38:39], v[50:51]
	v_fma_f64 v[46:47], v[48:49], s[2:3], v[72:73]
	v_fma_f64 v[50:51], v[48:49], s[8:9], v[72:73]
	v_add_f64_e32 v[72:73], v[54:55], v[58:59]
	v_fma_f64 v[48:49], v[52:53], s[8:9], v[74:75]
	v_fma_f64 v[52:53], v[52:53], s[2:3], v[74:75]
	v_add_f64_e32 v[74:75], v[56:57], v[60:61]
	ds_store_b128 v0, v[38:41]
	ds_store_b128 v0, v[46:49] offset:624
	v_fma_f64 v[72:73], v[72:73], -0.5, v[42:43]
	v_add_f64_e32 v[42:43], v[42:43], v[54:55]
	v_fma_f64 v[74:75], v[74:75], -0.5, v[44:45]
	v_add_f64_e32 v[44:45], v[44:45], v[56:57]
	v_add_f64_e64 v[56:57], v[56:57], -v[60:61]
	scratch_store_b32 off, v0, off offset:624 ; 4-byte Folded Spill
	ds_store_b128 v0, v[50:53] offset:1248
	v_mad_u16 v0, 0x75, v81, v82
	s_delay_alu instid0(VALU_DEP_1) | instskip(NEXT) | instid1(VALU_DEP_1)
	v_and_b32_e32 v0, 0xffff, v0
	v_lshlrev_b32_e32 v0, 4, v0
	v_add_f64_e32 v[42:43], v[42:43], v[58:59]
	v_add_f64_e32 v[44:45], v[44:45], v[60:61]
	v_add_f64_e64 v[60:61], v[54:55], -v[58:59]
	v_fma_f64 v[54:55], v[56:57], s[2:3], v[72:73]
	v_fma_f64 v[58:59], v[56:57], s[8:9], v[72:73]
	v_add_f64_e32 v[72:73], v[62:63], v[68:69]
	s_delay_alu instid0(VALU_DEP_4) | instskip(SKIP_2) | instid1(VALU_DEP_4)
	v_fma_f64 v[56:57], v[60:61], s[8:9], v[74:75]
	v_fma_f64 v[60:61], v[60:61], s[2:3], v[74:75]
	v_add_f64_e32 v[74:75], v[66:67], v[70:71]
	v_fma_f64 v[72:73], v[72:73], -0.5, v[14:15]
	v_add_f64_e32 v[14:15], v[14:15], v[62:63]
	v_add_f64_e64 v[62:63], v[62:63], -v[68:69]
	ds_store_b128 v0, v[42:45]
	ds_store_b128 v0, v[54:57] offset:624
	scratch_store_b32 off, v0, off offset:620 ; 4-byte Folded Spill
	ds_store_b128 v0, v[58:61] offset:1248
	v_fma_f64 v[74:75], v[74:75], -0.5, v[16:17]
	v_add_f64_e32 v[16:17], v[16:17], v[66:67]
	v_add_f64_e32 v[14:15], v[14:15], v[68:69]
	v_fma_f64 v[66:67], v[76:77], s[2:3], v[72:73]
	v_mad_u16 v0, 0x75, v83, v84
	s_delay_alu instid0(VALU_DEP_1) | instskip(NEXT) | instid1(VALU_DEP_1)
	v_and_b32_e32 v0, 0xffff, v0
	v_lshlrev_b32_e32 v0, 4, v0
	v_fma_f64 v[68:69], v[62:63], s[8:9], v[74:75]
	v_add_f64_e32 v[16:17], v[16:17], v[70:71]
	v_fma_f64 v[70:71], v[76:77], s[8:9], v[72:73]
	v_fma_f64 v[72:73], v[62:63], s[2:3], v[74:75]
	ds_store_b128 v0, v[14:17]
	ds_store_b128 v0, v[66:69] offset:624
	scratch_store_b32 off, v0, off offset:616 ; 4-byte Folded Spill
	ds_store_b128 v0, v[70:73] offset:1248
	v_lshlrev_b32_e32 v0, 5, v212
	global_wb scope:SCOPE_SE
	s_wait_storecnt_dscnt 0x0
	s_barrier_signal -1
	s_barrier_wait -1
	global_inv scope:SCOPE_SE
	s_clause 0x1
	global_load_b128 v[144:147], v0, s[0:1] offset:1664
	global_load_b128 v[148:151], v0, s[0:1] offset:1680
	ds_load_b128 v[0:3], v64 offset:9360
	ds_load_b128 v[12:15], v64 offset:7488
	s_wait_loadcnt_dscnt 0x101
	v_mul_f64_e32 v[16:17], v[2:3], v[146:147]
	s_delay_alu instid0(VALU_DEP_1) | instskip(SKIP_1) | instid1(VALU_DEP_1)
	v_fma_f64 v[24:25], v[0:1], v[144:145], -v[16:17]
	v_mul_f64_e32 v[0:1], v[0:1], v[146:147]
	v_fma_f64 v[26:27], v[2:3], v[144:145], v[0:1]
	ds_load_b128 v[0:3], v64 offset:18720
	ds_load_b128 v[16:19], v64 offset:20592
	s_wait_loadcnt_dscnt 0x1
	v_mul_f64_e32 v[20:21], v[2:3], v[150:151]
	s_delay_alu instid0(VALU_DEP_1) | instskip(SKIP_1) | instid1(VALU_DEP_1)
	v_fma_f64 v[28:29], v[0:1], v[148:149], -v[20:21]
	v_mul_f64_e32 v[0:1], v[0:1], v[150:151]
	v_fma_f64 v[30:31], v[2:3], v[148:149], v[0:1]
	ds_load_b128 v[0:3], v64 offset:11232
	ds_load_b128 v[20:23], v64 offset:13104
	s_wait_dscnt 0x1
	v_mul_f64_e32 v[32:33], v[2:3], v[146:147]
	s_delay_alu instid0(VALU_DEP_1) | instskip(SKIP_1) | instid1(VALU_DEP_1)
	v_fma_f64 v[32:33], v[0:1], v[144:145], -v[32:33]
	v_mul_f64_e32 v[0:1], v[0:1], v[146:147]
	v_fma_f64 v[34:35], v[2:3], v[144:145], v[0:1]
	v_mul_f64_e32 v[0:1], v[18:19], v[150:151]
	s_delay_alu instid0(VALU_DEP_1) | instskip(SKIP_1) | instid1(VALU_DEP_1)
	v_fma_f64 v[36:37], v[16:17], v[148:149], -v[0:1]
	v_mul_f64_e32 v[0:1], v[16:17], v[150:151]
	v_fma_f64 v[38:39], v[18:19], v[148:149], v[0:1]
	v_mul_u32_u24_e32 v0, 0x8c09, v6
	s_delay_alu instid0(VALU_DEP_1) | instskip(NEXT) | instid1(VALU_DEP_1)
	v_lshrrev_b32_e32 v0, 22, v0
	v_mul_lo_u16 v0, 0x75, v0
	s_delay_alu instid0(VALU_DEP_1) | instskip(NEXT) | instid1(VALU_DEP_1)
	v_sub_nc_u16 v74, v4, v0
	v_lshlrev_b16 v0, 5, v74
	s_delay_alu instid0(VALU_DEP_1) | instskip(NEXT) | instid1(VALU_DEP_1)
	v_and_b32_e32 v0, 0xffff, v0
	v_add_co_u32 v0, s14, s0, v0
	s_wait_alu 0xf1ff
	v_add_co_ci_u32_e64 v1, null, s1, 0, s14
	s_clause 0x1
	global_load_b128 v[192:195], v[0:1], off offset:1664
	global_load_b128 v[40:43], v[0:1], off offset:1680
	s_wait_loadcnt_dscnt 0x100
	v_mul_f64_e32 v[0:1], v[22:23], v[194:195]
	s_delay_alu instid0(VALU_DEP_1) | instskip(SKIP_1) | instid1(VALU_DEP_1)
	v_fma_f64 v[5:6], v[20:21], v[192:193], -v[0:1]
	v_mul_f64_e32 v[0:1], v[20:21], v[194:195]
	v_fma_f64 v[44:45], v[22:23], v[192:193], v[0:1]
	ds_load_b128 v[0:3], v64 offset:22464
	ds_load_b128 v[16:19], v64 offset:24336
	s_wait_loadcnt 0x0
	scratch_store_b128 off, v[40:43], off offset:780 ; 16-byte Folded Spill
	s_wait_dscnt 0x1
	v_mul_f64_e32 v[20:21], v[2:3], v[42:43]
	s_delay_alu instid0(VALU_DEP_1) | instskip(SKIP_1) | instid1(VALU_DEP_2)
	v_fma_f64 v[46:47], v[0:1], v[40:41], -v[20:21]
	v_mul_f64_e32 v[0:1], v[0:1], v[42:43]
	v_add_f64_e32 v[50:51], v[5:6], v[46:47]
	s_delay_alu instid0(VALU_DEP_2) | instskip(SKIP_1) | instid1(VALU_DEP_1)
	v_fma_f64 v[48:49], v[2:3], v[40:41], v[0:1]
	v_mul_u32_u24_e32 v0, 0x8c09, v10
	v_lshrrev_b32_e32 v0, 22, v0
	s_delay_alu instid0(VALU_DEP_1) | instskip(NEXT) | instid1(VALU_DEP_1)
	v_mul_lo_u16 v0, 0x75, v0
	v_sub_nc_u16 v7, v7, v0
	s_delay_alu instid0(VALU_DEP_1) | instskip(NEXT) | instid1(VALU_DEP_1)
	v_lshlrev_b16 v0, 5, v7
	v_and_b32_e32 v0, 0xffff, v0
	s_delay_alu instid0(VALU_DEP_1)
	v_add_co_u32 v0, s14, s0, v0
	s_wait_alu 0xf1ff
	v_add_co_ci_u32_e64 v1, null, s1, 0, s14
	s_clause 0x1
	global_load_b128 v[200:203], v[0:1], off offset:1664
	global_load_b128 v[196:199], v[0:1], off offset:1680
	ds_load_b128 v[0:3], v64 offset:14976
	ds_load_b128 v[20:23], v64 offset:16848
	v_add_f64_e32 v[68:69], v[44:45], v[48:49]
	v_add_f64_e64 v[70:71], v[44:45], -v[48:49]
	s_wait_loadcnt_dscnt 0x101
	v_mul_f64_e32 v[40:41], v[2:3], v[202:203]
	s_delay_alu instid0(VALU_DEP_1) | instskip(SKIP_1) | instid1(VALU_DEP_1)
	v_fma_f64 v[52:53], v[0:1], v[200:201], -v[40:41]
	v_mul_f64_e32 v[0:1], v[0:1], v[202:203]
	v_fma_f64 v[54:55], v[2:3], v[200:201], v[0:1]
	s_wait_loadcnt 0x0
	v_mul_f64_e32 v[0:1], v[18:19], v[198:199]
	s_delay_alu instid0(VALU_DEP_1) | instskip(SKIP_1) | instid1(VALU_DEP_1)
	v_fma_f64 v[56:57], v[16:17], v[196:197], -v[0:1]
	v_mul_f64_e32 v[0:1], v[16:17], v[198:199]
	v_fma_f64 v[58:59], v[18:19], v[196:197], v[0:1]
	v_mul_u32_u24_e32 v0, 0x8c09, v11
	s_delay_alu instid0(VALU_DEP_1) | instskip(NEXT) | instid1(VALU_DEP_1)
	v_lshrrev_b32_e32 v0, 22, v0
	v_mul_lo_u16 v0, 0x75, v0
	s_delay_alu instid0(VALU_DEP_1) | instskip(NEXT) | instid1(VALU_DEP_1)
	v_sub_nc_u16 v75, v9, v0
	v_lshlrev_b16 v0, 5, v75
	s_delay_alu instid0(VALU_DEP_1) | instskip(NEXT) | instid1(VALU_DEP_1)
	v_and_b32_e32 v0, 0xffff, v0
	v_add_co_u32 v0, s14, s0, v0
	s_wait_alu 0xf1ff
	v_add_co_ci_u32_e64 v1, null, s1, 0, s14
	s_clause 0x1
	global_load_b128 v[208:211], v[0:1], off offset:1664
	global_load_b128 v[204:207], v[0:1], off offset:1680
	s_wait_loadcnt_dscnt 0x100
	v_mul_f64_e32 v[0:1], v[22:23], v[210:211]
	s_delay_alu instid0(VALU_DEP_1) | instskip(SKIP_2) | instid1(VALU_DEP_2)
	v_fma_f64 v[60:61], v[20:21], v[208:209], -v[0:1]
	v_mul_f64_e32 v[0:1], v[20:21], v[210:211]
	v_add_f64_e32 v[20:21], v[24:25], v[28:29]
	v_fma_f64 v[9:10], v[22:23], v[208:209], v[0:1]
	ds_load_b128 v[0:3], v64 offset:26208
	s_wait_loadcnt_dscnt 0x0
	v_mul_f64_e32 v[16:17], v[2:3], v[206:207]
	s_delay_alu instid0(VALU_DEP_1) | instskip(SKIP_1) | instid1(VALU_DEP_1)
	v_fma_f64 v[62:63], v[0:1], v[204:205], -v[16:17]
	v_mul_f64_e32 v[0:1], v[0:1], v[206:207]
	v_fma_f64 v[66:67], v[2:3], v[204:205], v[0:1]
	ds_load_b128 v[0:3], v64
	ds_load_b128 v[16:19], v64 offset:1872
	s_wait_dscnt 0x1
	v_fma_f64 v[22:23], v[20:21], -0.5, v[0:1]
	v_add_f64_e32 v[20:21], v[26:27], v[30:31]
	v_add_f64_e32 v[0:1], v[0:1], v[24:25]
	v_add_f64_e64 v[72:73], v[9:10], -v[66:67]
	s_delay_alu instid0(VALU_DEP_3) | instskip(SKIP_4) | instid1(VALU_DEP_4)
	v_fma_f64 v[40:41], v[20:21], -0.5, v[2:3]
	v_add_f64_e32 v[2:3], v[2:3], v[26:27]
	v_add_f64_e64 v[26:27], v[26:27], -v[30:31]
	v_add_f64_e32 v[0:1], v[0:1], v[28:29]
	v_add_f64_e64 v[28:29], v[24:25], -v[28:29]
	v_add_f64_e32 v[2:3], v[2:3], v[30:31]
	s_delay_alu instid0(VALU_DEP_4) | instskip(SKIP_1) | instid1(VALU_DEP_4)
	v_fma_f64 v[20:21], v[26:27], s[2:3], v[22:23]
	v_fma_f64 v[24:25], v[26:27], s[8:9], v[22:23]
	;; [unrolled: 1-line block ×4, first 2 shown]
	v_add_f64_e32 v[28:29], v[32:33], v[36:37]
	s_wait_dscnt 0x0
	s_delay_alu instid0(VALU_DEP_1) | instskip(SKIP_2) | instid1(VALU_DEP_2)
	v_fma_f64 v[30:31], v[28:29], -0.5, v[16:17]
	v_add_f64_e32 v[28:29], v[34:35], v[38:39]
	v_add_f64_e32 v[16:17], v[16:17], v[32:33]
	v_fma_f64 v[40:41], v[28:29], -0.5, v[18:19]
	v_add_f64_e32 v[18:19], v[18:19], v[34:35]
	v_add_f64_e64 v[34:35], v[34:35], -v[38:39]
	s_delay_alu instid0(VALU_DEP_4) | instskip(SKIP_1) | instid1(VALU_DEP_4)
	v_add_f64_e32 v[16:17], v[16:17], v[36:37]
	v_add_f64_e64 v[36:37], v[32:33], -v[36:37]
	v_add_f64_e32 v[18:19], v[18:19], v[38:39]
	s_delay_alu instid0(VALU_DEP_4) | instskip(SKIP_1) | instid1(VALU_DEP_4)
	v_fma_f64 v[28:29], v[34:35], s[2:3], v[30:31]
	v_fma_f64 v[32:33], v[34:35], s[8:9], v[30:31]
	;; [unrolled: 1-line block ×4, first 2 shown]
	ds_load_b128 v[36:39], v64 offset:3744
	ds_load_b128 v[40:43], v64 offset:5616
	global_wb scope:SCOPE_SE
	s_wait_storecnt_dscnt 0x0
	s_barrier_signal -1
	s_barrier_wait -1
	global_inv scope:SCOPE_SE
	ds_store_b128 v64, v[0:3]
	ds_store_b128 v64, v[20:23] offset:1872
	ds_store_b128 v64, v[16:19] offset:5616
	;; [unrolled: 1-line block ×5, first 2 shown]
	v_fma_f64 v[50:51], v[50:51], -0.5, v[36:37]
	v_fma_f64 v[68:69], v[68:69], -0.5, v[38:39]
	v_add_f64_e32 v[38:39], v[38:39], v[44:45]
	v_add_f64_e32 v[36:37], v[36:37], v[5:6]
	v_add_f64_e64 v[5:6], v[5:6], -v[46:47]
	v_and_b32_e32 v0, 0xffff, v74
	s_delay_alu instid0(VALU_DEP_1) | instskip(SKIP_1) | instid1(VALU_DEP_1)
	v_lshlrev_b32_e32 v1, 4, v0
	v_and_b32_e32 v0, 0xffff, v7
	v_lshlrev_b32_e32 v0, 4, v0
	v_fma_f64 v[44:45], v[70:71], s[2:3], v[50:51]
	v_add_f64_e32 v[38:39], v[38:39], v[48:49]
	v_add_f64_e32 v[36:37], v[36:37], v[46:47]
	v_fma_f64 v[48:49], v[70:71], s[8:9], v[50:51]
	v_fma_f64 v[46:47], v[5:6], s[8:9], v[68:69]
	;; [unrolled: 1-line block ×3, first 2 shown]
	v_add_f64_e32 v[68:69], v[54:55], v[58:59]
	v_add_f64_e32 v[5:6], v[52:53], v[56:57]
	;; [unrolled: 1-line block ×3, first 2 shown]
	ds_store_b128 v1, v[36:39] offset:11232
	ds_store_b128 v1, v[44:47] offset:13104
	scratch_store_b32 off, v1, off offset:804 ; 4-byte Folded Spill
	v_fma_f64 v[68:69], v[68:69], -0.5, v[42:43]
	v_add_f64_e32 v[42:43], v[42:43], v[54:55]
	v_fma_f64 v[5:6], v[5:6], -0.5, v[40:41]
	v_add_f64_e32 v[40:41], v[40:41], v[52:53]
	v_add_f64_e64 v[54:55], v[54:55], -v[58:59]
	s_delay_alu instid0(VALU_DEP_4) | instskip(SKIP_1) | instid1(VALU_DEP_4)
	v_add_f64_e32 v[42:43], v[42:43], v[58:59]
	v_add_f64_e64 v[58:59], v[52:53], -v[56:57]
	v_add_f64_e32 v[40:41], v[40:41], v[56:57]
	s_delay_alu instid0(VALU_DEP_4)
	v_fma_f64 v[52:53], v[54:55], s[2:3], v[5:6]
	v_fma_f64 v[56:57], v[54:55], s[8:9], v[5:6]
	v_add_f64_e32 v[5:6], v[60:61], v[62:63]
	v_fma_f64 v[54:55], v[58:59], s[8:9], v[68:69]
	v_fma_f64 v[58:59], v[58:59], s[2:3], v[68:69]
	v_add_f64_e32 v[68:69], v[9:10], v[66:67]
	ds_store_b128 v1, v[48:51] offset:14976
	ds_store_b128 v0, v[40:43] offset:16848
	;; [unrolled: 1-line block ×3, first 2 shown]
	v_fma_f64 v[5:6], v[5:6], -0.5, v[12:13]
	scratch_store_b32 off, v0, off offset:800 ; 4-byte Folded Spill
	ds_store_b128 v0, v[56:59] offset:20592
	v_fma_f64 v[68:69], v[68:69], -0.5, v[14:15]
	v_add_f64_e32 v[14:15], v[14:15], v[9:10]
	v_add_f64_e32 v[9:10], v[70:71], v[62:63]
	v_and_b32_e32 v0, 0xffff, v75
	v_lshlrev_b32_e32 v49, 6, v8
	s_delay_alu instid0(VALU_DEP_2)
	v_lshlrev_b32_e32 v0, 4, v0
	v_add_f64_e32 v[11:12], v[14:15], v[66:67]
	v_add_f64_e64 v[13:14], v[60:61], -v[62:63]
	v_fma_f64 v[66:67], v[72:73], s[8:9], v[5:6]
	v_fma_f64 v[60:61], v[72:73], s[2:3], v[5:6]
	v_lshlrev_b32_e32 v5, 6, v212
	s_delay_alu instid0(VALU_DEP_4)
	v_fma_f64 v[62:63], v[13:14], s[8:9], v[68:69]
	v_fma_f64 v[68:69], v[13:14], s[2:3], v[68:69]
	ds_store_b128 v0, v[9:12] offset:22464
	ds_store_b128 v0, v[60:63] offset:24336
	scratch_store_b32 off, v0, off offset:796 ; 4-byte Folded Spill
	ds_store_b128 v0, v[66:69] offset:26208
	global_wb scope:SCOPE_SE
	s_wait_storecnt_dscnt 0x0
	s_barrier_signal -1
	s_barrier_wait -1
	global_inv scope:SCOPE_SE
	scratch_store_b32 off, v212, off offset:352 ; 4-byte Folded Spill
	s_clause 0x1
	global_load_b128 v[13:16], v5, s[0:1] offset:5408
	global_load_b128 v[212:215], v5, s[0:1] offset:5424
	ds_load_b128 v[0:3], v64 offset:5616
	ds_load_b128 v[9:12], v64 offset:3744
	s_mov_b32 s8, 0x134454ff
	s_mov_b32 s9, 0x3fee6f0e
	s_wait_alu 0xfffe
	s_mov_b32 s14, s8
	s_mov_b32 s3, 0xbfe2cf23
	s_wait_loadcnt_dscnt 0x101
	v_mul_f64_e32 v[6:7], v[2:3], v[15:16]
	scratch_store_b128 off, v[13:16], off offset:764 ; 16-byte Folded Spill
	v_fma_f64 v[25:26], v[0:1], v[13:14], -v[6:7]
	v_mul_f64_e32 v[0:1], v[0:1], v[15:16]
	s_delay_alu instid0(VALU_DEP_1)
	v_fma_f64 v[27:28], v[2:3], v[13:14], v[0:1]
	ds_load_b128 v[0:3], v64 offset:11232
	ds_load_b128 v[13:16], v64 offset:13104
	s_clause 0x1
	global_load_b128 v[220:223], v5, s[0:1] offset:5440
	global_load_b128 v[216:219], v5, s[0:1] offset:5456
	s_wait_loadcnt_dscnt 0x201
	v_mul_f64_e32 v[6:7], v[2:3], v[214:215]
	s_delay_alu instid0(VALU_DEP_1) | instskip(SKIP_1) | instid1(VALU_DEP_1)
	v_fma_f64 v[29:30], v[0:1], v[212:213], -v[6:7]
	v_mul_f64_e32 v[0:1], v[0:1], v[214:215]
	v_fma_f64 v[31:32], v[2:3], v[212:213], v[0:1]
	ds_load_b128 v[0:3], v64 offset:16848
	ds_load_b128 v[17:20], v64 offset:14976
	s_wait_loadcnt_dscnt 0x101
	v_mul_f64_e32 v[5:6], v[2:3], v[222:223]
	s_delay_alu instid0(VALU_DEP_1) | instskip(SKIP_1) | instid1(VALU_DEP_2)
	v_fma_f64 v[33:34], v[0:1], v[220:221], -v[5:6]
	v_mul_f64_e32 v[0:1], v[0:1], v[222:223]
	v_add_f64_e64 v[82:83], v[29:30], -v[33:34]
	s_delay_alu instid0(VALU_DEP_2)
	v_fma_f64 v[35:36], v[2:3], v[220:221], v[0:1]
	ds_load_b128 v[0:3], v64 offset:22464
	ds_load_b128 v[21:24], v64 offset:24336
	s_clause 0x1
	global_load_b128 v[228:231], v49, s[0:1] offset:5408
	global_load_b128 v[224:227], v49, s[0:1] offset:5424
	s_wait_loadcnt_dscnt 0x201
	v_mul_f64_e32 v[5:6], v[2:3], v[218:219]
	v_add_f64_e64 v[78:79], v[31:32], -v[35:36]
	s_delay_alu instid0(VALU_DEP_2) | instskip(SKIP_1) | instid1(VALU_DEP_2)
	v_fma_f64 v[37:38], v[0:1], v[216:217], -v[5:6]
	v_mul_f64_e32 v[0:1], v[0:1], v[218:219]
	v_add_f64_e64 v[80:81], v[25:26], -v[37:38]
	s_delay_alu instid0(VALU_DEP_2)
	v_fma_f64 v[39:40], v[2:3], v[216:217], v[0:1]
	ds_load_b128 v[0:3], v64 offset:7488
	ds_load_b128 v[5:8], v64 offset:9360
	s_clause 0x1
	global_load_b128 v[236:239], v49, s[0:1] offset:5440
	global_load_b128 v[232:235], v49, s[0:1] offset:5456
	v_add_f64_e64 v[76:77], v[27:28], -v[39:40]
	s_wait_loadcnt_dscnt 0x301
	v_mul_f64_e32 v[41:42], v[2:3], v[230:231]
	s_delay_alu instid0(VALU_DEP_1) | instskip(SKIP_1) | instid1(VALU_DEP_1)
	v_fma_f64 v[41:42], v[0:1], v[228:229], -v[41:42]
	v_mul_f64_e32 v[0:1], v[0:1], v[230:231]
	v_fma_f64 v[43:44], v[2:3], v[228:229], v[0:1]
	s_wait_loadcnt 0x2
	v_mul_f64_e32 v[0:1], v[15:16], v[226:227]
	s_delay_alu instid0(VALU_DEP_1) | instskip(SKIP_1) | instid1(VALU_DEP_1)
	v_fma_f64 v[45:46], v[13:14], v[224:225], -v[0:1]
	v_mul_f64_e32 v[0:1], v[13:14], v[226:227]
	v_fma_f64 v[47:48], v[15:16], v[224:225], v[0:1]
	ds_load_b128 v[0:3], v64 offset:18720
	ds_load_b128 v[13:16], v64 offset:20592
	s_wait_loadcnt_dscnt 0x101
	v_mul_f64_e32 v[49:50], v[2:3], v[238:239]
	s_delay_alu instid0(VALU_DEP_1) | instskip(SKIP_1) | instid1(VALU_DEP_1)
	v_fma_f64 v[49:50], v[0:1], v[236:237], -v[49:50]
	v_mul_f64_e32 v[0:1], v[0:1], v[238:239]
	v_fma_f64 v[51:52], v[2:3], v[236:237], v[0:1]
	v_lshlrev_b32_e32 v2, 6, v4
	s_clause 0x3
	global_load_b128 v[244:247], v2, s[0:1] offset:5408
	global_load_b128 v[240:243], v2, s[0:1] offset:5424
	;; [unrolled: 1-line block ×4, first 2 shown]
	s_wait_loadcnt 0x4
	v_mul_f64_e32 v[0:1], v[23:24], v[234:235]
	s_mov_b32 s0, 0x4755a5e
	s_mov_b32 s1, 0x3fe2cf23
	s_wait_alu 0xfffe
	s_mov_b32 s2, s0
	s_delay_alu instid0(VALU_DEP_1) | instskip(SKIP_1) | instid1(VALU_DEP_1)
	v_fma_f64 v[53:54], v[21:22], v[232:233], -v[0:1]
	v_mul_f64_e32 v[0:1], v[21:22], v[234:235]
	v_fma_f64 v[55:56], v[23:24], v[232:233], v[0:1]
	s_wait_loadcnt 0x3
	v_mul_f64_e32 v[0:1], v[7:8], v[246:247]
	s_delay_alu instid0(VALU_DEP_1) | instskip(SKIP_1) | instid1(VALU_DEP_1)
	v_fma_f64 v[57:58], v[5:6], v[244:245], -v[0:1]
	v_mul_f64_e32 v[0:1], v[5:6], v[246:247]
	v_fma_f64 v[59:60], v[7:8], v[244:245], v[0:1]
	s_wait_loadcnt 0x2
	v_mul_f64_e32 v[0:1], v[19:20], v[242:243]
	s_delay_alu instid0(VALU_DEP_1) | instskip(SKIP_1) | instid1(VALU_DEP_1)
	v_fma_f64 v[61:62], v[17:18], v[240:241], -v[0:1]
	v_mul_f64_e32 v[0:1], v[17:18], v[242:243]
	v_fma_f64 v[66:67], v[19:20], v[240:241], v[0:1]
	s_wait_loadcnt_dscnt 0x100
	v_mul_f64_e32 v[0:1], v[15:16], v[254:255]
	s_delay_alu instid0(VALU_DEP_1) | instskip(SKIP_2) | instid1(VALU_DEP_2)
	v_fma_f64 v[68:69], v[13:14], v[252:253], -v[0:1]
	v_mul_f64_e32 v[0:1], v[13:14], v[254:255]
	v_add_f64_e32 v[13:14], v[29:30], v[33:34]
	v_fma_f64 v[70:71], v[15:16], v[252:253], v[0:1]
	ds_load_b128 v[0:3], v64 offset:26208
	s_wait_loadcnt_dscnt 0x0
	v_mul_f64_e32 v[4:5], v[2:3], v[250:251]
	s_delay_alu instid0(VALU_DEP_1) | instskip(SKIP_1) | instid1(VALU_DEP_1)
	v_fma_f64 v[72:73], v[0:1], v[248:249], -v[4:5]
	v_mul_f64_e32 v[0:1], v[0:1], v[250:251]
	v_fma_f64 v[74:75], v[2:3], v[248:249], v[0:1]
	v_add_f64_e64 v[0:1], v[25:26], -v[29:30]
	v_add_f64_e64 v[2:3], v[37:38], -v[33:34]
	s_delay_alu instid0(VALU_DEP_1) | instskip(SKIP_2) | instid1(VALU_DEP_1)
	v_add_f64_e32 v[17:18], v[0:1], v[2:3]
	v_add_f64_e64 v[0:1], v[27:28], -v[31:32]
	v_add_f64_e64 v[2:3], v[39:40], -v[35:36]
	v_add_f64_e32 v[19:20], v[0:1], v[2:3]
	ds_load_b128 v[0:3], v64
	ds_load_b128 v[4:7], v64 offset:1872
	s_wait_dscnt 0x1
	v_fma_f64 v[21:22], v[13:14], -0.5, v[0:1]
	v_add_f64_e32 v[13:14], v[31:32], v[35:36]
	s_delay_alu instid0(VALU_DEP_1) | instskip(NEXT) | instid1(VALU_DEP_3)
	v_fma_f64 v[23:24], v[13:14], -0.5, v[2:3]
	v_fma_f64 v[13:14], v[76:77], s[8:9], v[21:22]
	v_fma_f64 v[21:22], v[76:77], s[14:15], v[21:22]
	s_delay_alu instid0(VALU_DEP_3) | instskip(NEXT) | instid1(VALU_DEP_3)
	v_fma_f64 v[15:16], v[80:81], s[14:15], v[23:24]
	v_fma_f64 v[13:14], v[78:79], s[0:1], v[13:14]
	s_wait_alu 0xfffe
	s_delay_alu instid0(VALU_DEP_3) | instskip(SKIP_1) | instid1(VALU_DEP_4)
	v_fma_f64 v[21:22], v[78:79], s[2:3], v[21:22]
	v_fma_f64 v[23:24], v[80:81], s[8:9], v[23:24]
	;; [unrolled: 1-line block ×3, first 2 shown]
	s_delay_alu instid0(VALU_DEP_4) | instskip(NEXT) | instid1(VALU_DEP_4)
	v_fma_f64 v[13:14], v[17:18], s[16:17], v[13:14]
	v_fma_f64 v[17:18], v[17:18], s[16:17], v[21:22]
	v_add_f64_e32 v[21:22], v[25:26], v[37:38]
	v_fma_f64 v[23:24], v[82:83], s[0:1], v[23:24]
	v_fma_f64 v[15:16], v[19:20], s[16:17], v[15:16]
	s_delay_alu instid0(VALU_DEP_3) | instskip(SKIP_4) | instid1(VALU_DEP_4)
	v_fma_f64 v[84:85], v[21:22], -0.5, v[0:1]
	v_add_f64_e32 v[21:22], v[27:28], v[39:40]
	v_add_f64_e32 v[0:1], v[0:1], v[25:26]
	v_fma_f64 v[19:20], v[19:20], s[16:17], v[23:24]
	v_add_f64_e64 v[25:26], v[29:30], -v[25:26]
	v_fma_f64 v[86:87], v[21:22], -0.5, v[2:3]
	v_add_f64_e32 v[2:3], v[2:3], v[27:28]
	v_add_f64_e32 v[0:1], v[0:1], v[29:30]
	v_add_f64_e64 v[27:28], v[31:32], -v[27:28]
	v_add_f64_e64 v[29:30], v[33:34], -v[37:38]
	s_delay_alu instid0(VALU_DEP_4) | instskip(NEXT) | instid1(VALU_DEP_4)
	v_add_f64_e32 v[2:3], v[2:3], v[31:32]
	v_add_f64_e32 v[0:1], v[0:1], v[33:34]
	v_fma_f64 v[31:32], v[78:79], s[8:9], v[84:85]
	v_fma_f64 v[33:34], v[82:83], s[8:9], v[86:87]
	v_add_f64_e32 v[29:30], v[25:26], v[29:30]
	v_add_f64_e32 v[2:3], v[2:3], v[35:36]
	;; [unrolled: 1-line block ×3, first 2 shown]
	v_add_f64_e64 v[0:1], v[35:36], -v[39:40]
	v_fma_f64 v[35:36], v[82:83], s[14:15], v[86:87]
	v_fma_f64 v[31:32], v[76:77], s[2:3], v[31:32]
	v_add_f64_e64 v[82:83], v[45:46], -v[49:50]
	v_add_f64_e32 v[23:24], v[2:3], v[39:40]
	v_fma_f64 v[2:3], v[78:79], s[14:15], v[84:85]
	v_add_f64_e32 v[0:1], v[27:28], v[0:1]
	v_fma_f64 v[27:28], v[80:81], s[2:3], v[33:34]
	v_fma_f64 v[33:34], v[80:81], s[0:1], v[35:36]
	v_add_f64_e64 v[80:81], v[41:42], -v[53:54]
	v_add_f64_e64 v[78:79], v[47:48], -v[51:52]
	;; [unrolled: 1-line block ×3, first 2 shown]
	v_fma_f64 v[2:3], v[76:77], s[0:1], v[2:3]
	v_add_f64_e64 v[76:77], v[43:44], -v[55:56]
	v_fma_f64 v[27:28], v[0:1], s[16:17], v[27:28]
	s_delay_alu instid0(VALU_DEP_3)
	v_fma_f64 v[25:26], v[29:30], s[16:17], v[2:3]
	v_fma_f64 v[29:30], v[29:30], s[16:17], v[31:32]
	;; [unrolled: 1-line block ×3, first 2 shown]
	v_add_f64_e64 v[0:1], v[41:42], -v[45:46]
	v_add_f64_e64 v[2:3], v[53:54], -v[49:50]
	;; [unrolled: 1-line block ×3, first 2 shown]
	s_delay_alu instid0(VALU_DEP_2) | instskip(SKIP_1) | instid1(VALU_DEP_1)
	v_add_f64_e32 v[0:1], v[0:1], v[2:3]
	v_add_f64_e64 v[2:3], v[43:44], -v[47:48]
	v_add_f64_e32 v[2:3], v[2:3], v[33:34]
	v_add_f64_e32 v[33:34], v[45:46], v[49:50]
	s_wait_dscnt 0x0
	s_delay_alu instid0(VALU_DEP_1) | instskip(SKIP_1) | instid1(VALU_DEP_1)
	v_fma_f64 v[37:38], v[33:34], -0.5, v[4:5]
	v_add_f64_e32 v[33:34], v[47:48], v[51:52]
	v_fma_f64 v[39:40], v[33:34], -0.5, v[6:7]
	s_delay_alu instid0(VALU_DEP_3) | instskip(SKIP_1) | instid1(VALU_DEP_3)
	v_fma_f64 v[33:34], v[76:77], s[8:9], v[37:38]
	v_fma_f64 v[37:38], v[76:77], s[14:15], v[37:38]
	;; [unrolled: 1-line block ×4, first 2 shown]
	s_delay_alu instid0(VALU_DEP_4) | instskip(NEXT) | instid1(VALU_DEP_4)
	v_fma_f64 v[33:34], v[78:79], s[0:1], v[33:34]
	v_fma_f64 v[37:38], v[78:79], s[2:3], v[37:38]
	s_delay_alu instid0(VALU_DEP_4) | instskip(NEXT) | instid1(VALU_DEP_4)
	v_fma_f64 v[35:36], v[82:83], s[2:3], v[35:36]
	v_fma_f64 v[39:40], v[82:83], s[0:1], v[39:40]
	;; [unrolled: 3-line block ×3, first 2 shown]
	v_add_f64_e32 v[0:1], v[41:42], v[53:54]
	v_fma_f64 v[35:36], v[2:3], s[16:17], v[35:36]
	v_fma_f64 v[39:40], v[2:3], s[16:17], v[39:40]
	v_add_f64_e32 v[2:3], v[43:44], v[55:56]
	s_delay_alu instid0(VALU_DEP_4) | instskip(SKIP_1) | instid1(VALU_DEP_3)
	v_fma_f64 v[0:1], v[0:1], -0.5, v[4:5]
	v_add_f64_e32 v[4:5], v[4:5], v[41:42]
	v_fma_f64 v[2:3], v[2:3], -0.5, v[6:7]
	v_add_f64_e32 v[6:7], v[6:7], v[43:44]
	s_delay_alu instid0(VALU_DEP_3) | instskip(SKIP_1) | instid1(VALU_DEP_3)
	v_add_f64_e32 v[4:5], v[4:5], v[45:46]
	v_add_f64_e64 v[45:46], v[47:48], -v[43:44]
	v_add_f64_e32 v[6:7], v[6:7], v[47:48]
	v_add_f64_e64 v[47:48], v[49:50], -v[53:54]
	s_delay_alu instid0(VALU_DEP_4)
	v_add_f64_e32 v[4:5], v[4:5], v[49:50]
	v_fma_f64 v[49:50], v[82:83], s[8:9], v[2:3]
	v_fma_f64 v[2:3], v[82:83], s[14:15], v[2:3]
	v_add_f64_e64 v[82:83], v[57:58], -v[72:73]
	v_add_f64_e32 v[6:7], v[6:7], v[51:52]
	v_add_f64_e32 v[41:42], v[4:5], v[53:54]
	v_add_f64_e64 v[4:5], v[51:52], -v[55:56]
	v_add_f64_e32 v[51:52], v[84:85], v[47:48]
	v_fma_f64 v[2:3], v[80:81], s[0:1], v[2:3]
	v_fma_f64 v[47:48], v[80:81], s[2:3], v[49:50]
	v_add_f64_e64 v[80:81], v[61:62], -v[68:69]
	v_add_f64_e32 v[43:44], v[6:7], v[55:56]
	v_fma_f64 v[6:7], v[78:79], s[14:15], v[0:1]
	v_fma_f64 v[0:1], v[78:79], s[8:9], v[0:1]
	v_add_f64_e32 v[4:5], v[45:46], v[4:5]
	v_add_f64_e64 v[78:79], v[59:60], -v[74:75]
	s_delay_alu instid0(VALU_DEP_4) | instskip(NEXT) | instid1(VALU_DEP_4)
	v_fma_f64 v[6:7], v[76:77], s[0:1], v[6:7]
	v_fma_f64 v[0:1], v[76:77], s[2:3], v[0:1]
	s_delay_alu instid0(VALU_DEP_4) | instskip(SKIP_1) | instid1(VALU_DEP_4)
	v_fma_f64 v[47:48], v[4:5], s[16:17], v[47:48]
	v_add_f64_e64 v[76:77], v[66:67], -v[70:71]
	v_fma_f64 v[45:46], v[51:52], s[16:17], v[6:7]
	s_delay_alu instid0(VALU_DEP_4)
	v_fma_f64 v[49:50], v[51:52], s[16:17], v[0:1]
	v_fma_f64 v[51:52], v[4:5], s[16:17], v[2:3]
	v_add_f64_e64 v[0:1], v[61:62], -v[57:58]
	v_add_f64_e64 v[2:3], v[68:69], -v[72:73]
	v_add_f64_e64 v[4:5], v[70:71], -v[74:75]
	v_add_f64_e32 v[6:7], v[59:60], v[74:75]
	s_delay_alu instid0(VALU_DEP_3) | instskip(SKIP_1) | instid1(VALU_DEP_3)
	v_add_f64_e32 v[0:1], v[0:1], v[2:3]
	v_add_f64_e64 v[2:3], v[66:67], -v[59:60]
	v_fma_f64 v[6:7], v[6:7], -0.5, v[11:12]
	s_delay_alu instid0(VALU_DEP_2) | instskip(SKIP_1) | instid1(VALU_DEP_3)
	v_add_f64_e32 v[2:3], v[2:3], v[4:5]
	v_add_f64_e32 v[4:5], v[57:58], v[72:73]
	v_fma_f64 v[55:56], v[80:81], s[8:9], v[6:7]
	v_fma_f64 v[6:7], v[80:81], s[14:15], v[6:7]
	s_delay_alu instid0(VALU_DEP_3) | instskip(NEXT) | instid1(VALU_DEP_3)
	v_fma_f64 v[4:5], v[4:5], -0.5, v[9:10]
	v_fma_f64 v[55:56], v[82:83], s[2:3], v[55:56]
	s_delay_alu instid0(VALU_DEP_3) | instskip(NEXT) | instid1(VALU_DEP_3)
	v_fma_f64 v[6:7], v[82:83], s[0:1], v[6:7]
	v_fma_f64 v[53:54], v[76:77], s[14:15], v[4:5]
	;; [unrolled: 1-line block ×3, first 2 shown]
	s_delay_alu instid0(VALU_DEP_4) | instskip(NEXT) | instid1(VALU_DEP_4)
	v_fma_f64 v[55:56], v[2:3], s[16:17], v[55:56]
	v_fma_f64 v[2:3], v[2:3], s[16:17], v[6:7]
	v_add_f64_e32 v[6:7], v[66:67], v[70:71]
	v_fma_f64 v[53:54], v[78:79], s[0:1], v[53:54]
	v_fma_f64 v[4:5], v[78:79], s[2:3], v[4:5]
	s_delay_alu instid0(VALU_DEP_3)
	v_fma_f64 v[6:7], v[6:7], -0.5, v[11:12]
	v_add_f64_e32 v[11:12], v[11:12], v[59:60]
	v_add_f64_e64 v[59:60], v[59:60], -v[66:67]
	v_fma_f64 v[53:54], v[0:1], s[16:17], v[53:54]
	v_fma_f64 v[0:1], v[0:1], s[16:17], v[4:5]
	v_add_f64_e32 v[4:5], v[61:62], v[68:69]
	s_delay_alu instid0(VALU_DEP_1) | instskip(SKIP_4) | instid1(VALU_DEP_4)
	v_fma_f64 v[4:5], v[4:5], -0.5, v[9:10]
	v_add_f64_e32 v[8:9], v[9:10], v[57:58]
	v_add_f64_e32 v[10:11], v[11:12], v[66:67]
	v_add_f64_e64 v[57:58], v[57:58], -v[61:62]
	v_add_f64_e64 v[66:67], v[74:75], -v[70:71]
	v_add_f64_e32 v[8:9], v[8:9], v[61:62]
	s_delay_alu instid0(VALU_DEP_4)
	v_add_f64_e32 v[10:11], v[10:11], v[70:71]
	v_add_f64_e64 v[61:62], v[72:73], -v[68:69]
	v_fma_f64 v[70:71], v[82:83], s[14:15], v[6:7]
	v_fma_f64 v[6:7], v[82:83], s[8:9], v[6:7]
	v_add_f64_e32 v[66:67], v[59:60], v[66:67]
	v_add_f64_e32 v[8:9], v[8:9], v[68:69]
	v_fma_f64 v[68:69], v[78:79], s[8:9], v[4:5]
	v_fma_f64 v[4:5], v[78:79], s[14:15], v[4:5]
	v_add_f64_e32 v[61:62], v[57:58], v[61:62]
	v_fma_f64 v[59:60], v[80:81], s[2:3], v[70:71]
	v_fma_f64 v[6:7], v[80:81], s[0:1], v[6:7]
	v_add_f64_e32 v[10:11], v[10:11], v[74:75]
	v_add_f64_e32 v[8:9], v[8:9], v[72:73]
	v_fma_f64 v[57:58], v[76:77], s[0:1], v[68:69]
	v_fma_f64 v[4:5], v[76:77], s[2:3], v[4:5]
	s_add_nc_u64 s[0:1], s[12:13], 0x6db0
	v_fma_f64 v[59:60], v[66:67], s[16:17], v[59:60]
	v_fma_f64 v[6:7], v[66:67], s[16:17], v[6:7]
	s_delay_alu instid0(VALU_DEP_4) | instskip(NEXT) | instid1(VALU_DEP_4)
	v_fma_f64 v[57:58], v[61:62], s[16:17], v[57:58]
	v_fma_f64 v[4:5], v[61:62], s[16:17], v[4:5]
	ds_store_b128 v64, v[21:24]
	ds_store_b128 v64, v[41:44] offset:1872
	ds_store_b128 v64, v[25:28] offset:11232
	ds_store_b128 v64, v[45:48] offset:13104
	ds_store_b128 v64, v[17:20] offset:22464
	ds_store_b128 v64, v[37:40] offset:24336
	ds_store_b128 v64, v[8:11] offset:3744
	ds_store_b128 v64, v[13:16] offset:5616
	ds_store_b128 v64, v[33:36] offset:7488
	ds_store_b128 v64, v[57:60] offset:9360
	ds_store_b128 v64, v[29:32] offset:16848
	ds_store_b128 v64, v[53:56] offset:14976
	ds_store_b128 v64, v[49:52] offset:18720
	ds_store_b128 v64, v[0:3] offset:20592
	ds_store_b128 v64, v[4:7] offset:26208
	global_wb scope:SCOPE_SE
	s_wait_storecnt_dscnt 0x0
	s_barrier_signal -1
	s_barrier_wait -1
	global_inv scope:SCOPE_SE
	scratch_load_b64 v[8:9], off, off       ; 8-byte Folded Reload
	s_wait_loadcnt 0x0
	global_load_b128 v[8:11], v[8:9], off offset:28080
	ds_load_b128 v[12:15], v64
	ds_load_b128 v[16:19], v64 offset:2160
	ds_load_b128 v[24:27], v64 offset:25920
	s_wait_loadcnt_dscnt 0x2
	v_mul_f64_e32 v[20:21], v[14:15], v[10:11]
	v_mul_f64_e32 v[22:23], v[12:13], v[10:11]
	s_delay_alu instid0(VALU_DEP_2) | instskip(NEXT) | instid1(VALU_DEP_2)
	v_fma_f64 v[10:11], v[12:13], v[8:9], -v[20:21]
	v_fma_f64 v[12:13], v[14:15], v[8:9], v[22:23]
	global_load_b128 v[20:23], v64, s[0:1] offset:2160
	s_wait_loadcnt_dscnt 0x1
	v_mul_f64_e32 v[8:9], v[18:19], v[22:23]
	v_mul_f64_e32 v[22:23], v[16:17], v[22:23]
	s_delay_alu instid0(VALU_DEP_2) | instskip(NEXT) | instid1(VALU_DEP_2)
	v_fma_f64 v[14:15], v[16:17], v[20:21], -v[8:9]
	v_fma_f64 v[16:17], v[18:19], v[20:21], v[22:23]
	s_clause 0x1
	global_load_b128 v[18:21], v64, s[0:1] offset:4320
	global_load_b128 v[28:31], v64, s[0:1] offset:6480
	ds_load_b128 v[32:35], v64 offset:4320
	ds_load_b128 v[36:39], v64 offset:6480
	s_wait_loadcnt_dscnt 0x101
	v_mul_f64_e32 v[8:9], v[34:35], v[20:21]
	v_mul_f64_e32 v[22:23], v[32:33], v[20:21]
	s_delay_alu instid0(VALU_DEP_2) | instskip(NEXT) | instid1(VALU_DEP_2)
	v_fma_f64 v[20:21], v[32:33], v[18:19], -v[8:9]
	v_fma_f64 v[22:23], v[34:35], v[18:19], v[22:23]
	s_wait_loadcnt_dscnt 0x0
	v_mul_f64_e32 v[8:9], v[38:39], v[30:31]
	v_mul_f64_e32 v[18:19], v[36:37], v[30:31]
	s_delay_alu instid0(VALU_DEP_2) | instskip(NEXT) | instid1(VALU_DEP_2)
	v_fma_f64 v[30:31], v[36:37], v[28:29], -v[8:9]
	v_fma_f64 v[32:33], v[38:39], v[28:29], v[18:19]
	s_clause 0x1
	global_load_b128 v[34:37], v64, s[0:1] offset:8640
	global_load_b128 v[38:41], v64, s[0:1] offset:10800
	ds_load_b128 v[42:45], v64 offset:8640
	ds_load_b128 v[46:49], v64 offset:10800
	s_wait_loadcnt_dscnt 0x101
	v_mul_f64_e32 v[8:9], v[44:45], v[36:37]
	v_mul_f64_e32 v[18:19], v[42:43], v[36:37]
	s_delay_alu instid0(VALU_DEP_2) | instskip(NEXT) | instid1(VALU_DEP_2)
	v_fma_f64 v[42:43], v[42:43], v[34:35], -v[8:9]
	v_fma_f64 v[44:45], v[44:45], v[34:35], v[18:19]
	;; [unrolled: 17-line block ×5, first 2 shown]
	s_wait_loadcnt_dscnt 0x0
	v_mul_f64_e32 v[8:9], v[76:77], v[68:69]
	v_mul_f64_e32 v[18:19], v[74:75], v[68:69]
	s_delay_alu instid0(VALU_DEP_2) | instskip(NEXT) | instid1(VALU_DEP_2)
	v_fma_f64 v[54:55], v[74:75], v[66:67], -v[8:9]
	v_fma_f64 v[56:57], v[76:77], v[66:67], v[18:19]
	global_load_b128 v[66:69], v64, s[0:1] offset:25920
	s_wait_loadcnt 0x0
	v_mul_f64_e32 v[8:9], v[26:27], v[68:69]
	v_mul_f64_e32 v[18:19], v[24:25], v[68:69]
	s_delay_alu instid0(VALU_DEP_2) | instskip(NEXT) | instid1(VALU_DEP_2)
	v_fma_f64 v[24:25], v[24:25], v[66:67], -v[8:9]
	v_fma_f64 v[26:27], v[26:27], v[66:67], v[18:19]
	ds_store_b128 v64, v[10:13]
	ds_store_b128 v64, v[14:17] offset:2160
	ds_store_b128 v64, v[20:23] offset:4320
	ds_store_b128 v64, v[30:33] offset:6480
	ds_store_b128 v64, v[42:45] offset:8640
	ds_store_b128 v64, v[34:37] offset:10800
	ds_store_b128 v64, v[50:53] offset:12960
	ds_store_b128 v64, v[38:41] offset:15120
	ds_store_b128 v64, v[58:61] offset:17280
	ds_store_b128 v64, v[46:49] offset:19440
	ds_store_b128 v64, v[70:73] offset:21600
	ds_store_b128 v64, v[54:57] offset:23760
	ds_store_b128 v64, v[24:27] offset:25920
	s_and_saveexec_b32 s2, vcc_lo
	s_cbranch_execz .LBB0_9
; %bb.8:
	s_wait_alu 0xfffe
	v_add_co_u32 v8, s0, s0, v64
	s_wait_alu 0xf1ff
	v_add_co_ci_u32_e64 v9, null, s1, 0, s0
	s_clause 0x8
	global_load_b128 v[10:13], v[8:9], off offset:1872
	global_load_b128 v[14:17], v[8:9], off offset:4032
	;; [unrolled: 1-line block ×9, first 2 shown]
	ds_load_b128 v[46:49], v64 offset:1872
	ds_load_b128 v[50:53], v64 offset:4032
	global_load_b128 v[54:57], v[8:9], off offset:21312
	ds_load_b128 v[58:61], v64 offset:6192
	s_wait_loadcnt_dscnt 0x902
	v_mul_f64_e32 v[62:63], v[48:49], v[12:13]
	v_mul_f64_e32 v[12:13], v[46:47], v[12:13]
	s_wait_loadcnt_dscnt 0x801
	v_mul_f64_e32 v[66:67], v[52:53], v[16:17]
	v_mul_f64_e32 v[16:17], v[50:51], v[16:17]
	s_delay_alu instid0(VALU_DEP_4) | instskip(NEXT) | instid1(VALU_DEP_4)
	v_fma_f64 v[46:47], v[46:47], v[10:11], -v[62:63]
	v_fma_f64 v[48:49], v[48:49], v[10:11], v[12:13]
	ds_load_b128 v[10:13], v64 offset:8352
	s_wait_loadcnt_dscnt 0x701
	v_mul_f64_e32 v[62:63], v[60:61], v[20:21]
	v_fma_f64 v[50:51], v[50:51], v[14:15], -v[66:67]
	v_fma_f64 v[52:53], v[52:53], v[14:15], v[16:17]
	global_load_b128 v[14:17], v[8:9], off offset:23472
	v_mul_f64_e32 v[20:21], v[58:59], v[20:21]
	ds_load_b128 v[66:69], v64 offset:10512
	s_wait_loadcnt_dscnt 0x701
	v_mul_f64_e32 v[70:71], v[12:13], v[24:25]
	v_mul_f64_e32 v[24:25], v[10:11], v[24:25]
	v_fma_f64 v[58:59], v[58:59], v[18:19], -v[62:63]
	v_fma_f64 v[60:61], v[60:61], v[18:19], v[20:21]
	global_load_b128 v[18:21], v[8:9], off offset:25632
	v_fma_f64 v[10:11], v[10:11], v[22:23], -v[70:71]
	global_load_b128 v[70:73], v[8:9], off offset:27792
	v_fma_f64 v[12:13], v[12:13], v[22:23], v[24:25]
	ds_load_b128 v[22:25], v64 offset:12672
	s_wait_loadcnt_dscnt 0x801
	v_mul_f64_e32 v[62:63], v[68:69], v[28:29]
	v_mul_f64_e32 v[28:29], v[66:67], v[28:29]
	s_wait_loadcnt_dscnt 0x700
	v_mul_f64_e32 v[8:9], v[24:25], v[32:33]
	v_mul_f64_e32 v[32:33], v[22:23], v[32:33]
	s_delay_alu instid0(VALU_DEP_4) | instskip(NEXT) | instid1(VALU_DEP_4)
	v_fma_f64 v[66:67], v[66:67], v[26:27], -v[62:63]
	v_fma_f64 v[68:69], v[68:69], v[26:27], v[28:29]
	ds_load_b128 v[26:29], v64 offset:14832
	v_fma_f64 v[22:23], v[22:23], v[30:31], -v[8:9]
	v_fma_f64 v[24:25], v[24:25], v[30:31], v[32:33]
	ds_load_b128 v[30:33], v64 offset:16992
	s_wait_loadcnt_dscnt 0x601
	v_mul_f64_e32 v[8:9], v[28:29], v[36:37]
	v_mul_f64_e32 v[36:37], v[26:27], v[36:37]
	s_delay_alu instid0(VALU_DEP_2) | instskip(SKIP_3) | instid1(VALU_DEP_4)
	v_fma_f64 v[26:27], v[26:27], v[34:35], -v[8:9]
	s_wait_loadcnt_dscnt 0x500
	v_mul_f64_e32 v[8:9], v[32:33], v[40:41]
	v_mul_f64_e32 v[40:41], v[30:31], v[40:41]
	v_fma_f64 v[28:29], v[28:29], v[34:35], v[36:37]
	ds_load_b128 v[34:37], v64 offset:19152
	v_fma_f64 v[30:31], v[30:31], v[38:39], -v[8:9]
	v_fma_f64 v[32:33], v[32:33], v[38:39], v[40:41]
	ds_load_b128 v[38:41], v64 offset:21312
	s_wait_loadcnt_dscnt 0x401
	v_mul_f64_e32 v[8:9], v[36:37], v[44:45]
	v_mul_f64_e32 v[44:45], v[34:35], v[44:45]
	s_delay_alu instid0(VALU_DEP_2) | instskip(SKIP_3) | instid1(VALU_DEP_4)
	v_fma_f64 v[34:35], v[34:35], v[42:43], -v[8:9]
	s_wait_loadcnt_dscnt 0x300
	v_mul_f64_e32 v[8:9], v[40:41], v[56:57]
	v_mul_f64_e32 v[56:57], v[38:39], v[56:57]
	v_fma_f64 v[36:37], v[36:37], v[42:43], v[44:45]
	ds_load_b128 v[42:45], v64 offset:23472
	v_fma_f64 v[38:39], v[38:39], v[54:55], -v[8:9]
	v_fma_f64 v[40:41], v[40:41], v[54:55], v[56:57]
	ds_load_b128 v[54:57], v64 offset:25632
	s_wait_loadcnt_dscnt 0x201
	v_mul_f64_e32 v[8:9], v[44:45], v[16:17]
	v_mul_f64_e32 v[16:17], v[42:43], v[16:17]
	s_delay_alu instid0(VALU_DEP_2) | instskip(NEXT) | instid1(VALU_DEP_2)
	v_fma_f64 v[42:43], v[42:43], v[14:15], -v[8:9]
	v_fma_f64 v[44:45], v[44:45], v[14:15], v[16:17]
	s_wait_loadcnt_dscnt 0x100
	v_mul_f64_e32 v[8:9], v[56:57], v[20:21]
	v_mul_f64_e32 v[20:21], v[54:55], v[20:21]
	ds_load_b128 v[14:17], v64 offset:27792
	v_fma_f64 v[54:55], v[54:55], v[18:19], -v[8:9]
	v_fma_f64 v[56:57], v[56:57], v[18:19], v[20:21]
	s_wait_loadcnt_dscnt 0x0
	v_mul_f64_e32 v[8:9], v[16:17], v[72:73]
	v_mul_f64_e32 v[18:19], v[14:15], v[72:73]
	s_delay_alu instid0(VALU_DEP_2) | instskip(NEXT) | instid1(VALU_DEP_2)
	v_fma_f64 v[14:15], v[14:15], v[70:71], -v[8:9]
	v_fma_f64 v[16:17], v[16:17], v[70:71], v[18:19]
	ds_store_b128 v64, v[46:49] offset:1872
	ds_store_b128 v64, v[50:53] offset:4032
	;; [unrolled: 1-line block ×13, first 2 shown]
.LBB0_9:
	s_wait_alu 0xfffe
	s_or_b32 exec_lo, exec_lo, s2
	global_wb scope:SCOPE_SE
	s_wait_dscnt 0x0
	s_barrier_signal -1
	s_barrier_wait -1
	global_inv scope:SCOPE_SE
	ds_load_b128 v[8:11], v64
	ds_load_b128 v[16:19], v64 offset:2160
	ds_load_b128 v[20:23], v64 offset:4320
	;; [unrolled: 1-line block ×12, first 2 shown]
	s_and_saveexec_b32 s0, vcc_lo
	s_cbranch_execz .LBB0_11
; %bb.10:
	ds_load_b128 v[0:3], v64 offset:1872
	ds_load_b128 v[4:7], v64 offset:4032
	;; [unrolled: 1-line block ×3, first 2 shown]
	s_wait_dscnt 0x0
	scratch_store_b128 off, v[60:63], off offset:56 ; 16-byte Folded Spill
	ds_load_b128 v[60:63], v64 offset:8352
	s_wait_dscnt 0x0
	scratch_store_b128 off, v[60:63], off offset:72 ; 16-byte Folded Spill
	ds_load_b128 v[60:63], v64 offset:10512
	;; [unrolled: 3-line block ×10, first 2 shown]
	s_wait_dscnt 0x0
	scratch_store_b128 off, v[60:63], off offset:8 ; 16-byte Folded Spill
.LBB0_11:
	s_wait_alu 0xfffe
	s_or_b32 exec_lo, exec_lo, s0
	s_wait_dscnt 0xb
	v_add_f64_e32 v[60:61], v[8:9], v[16:17]
	v_add_f64_e32 v[62:63], v[10:11], v[18:19]
	s_wait_dscnt 0x0
	v_add_f64_e64 v[68:69], v[18:19], -v[14:15]
	s_mov_b32 s42, 0x4267c47c
	s_mov_b32 s16, 0x42a4c3d2
	;; [unrolled: 1-line block ×12, first 2 shown]
	v_add_f64_e32 v[70:71], v[42:43], v[50:51]
	v_add_f64_e64 v[72:73], v[42:43], -v[50:51]
	v_add_f64_e32 v[74:75], v[34:35], v[46:47]
	v_add_f64_e64 v[76:77], v[34:35], -v[46:47]
	;; [unrolled: 2-line block ×4, first 2 shown]
	v_add_f64_e32 v[18:19], v[18:19], v[14:15]
	s_mov_b32 s26, 0xe00740e9
	s_mov_b32 s22, 0x1ea71119
	;; [unrolled: 1-line block ×12, first 2 shown]
	v_add_f64_e32 v[66:67], v[52:53], v[56:57]
	s_mov_b32 s29, 0x3fddbe06
	v_add_f64_e32 v[60:61], v[60:61], v[20:21]
	v_add_f64_e32 v[62:63], v[62:63], v[22:23]
	;; [unrolled: 1-line block ×3, first 2 shown]
	v_add_f64_e64 v[16:17], v[16:17], -v[12:13]
	s_mov_b32 s39, 0x3fea55e2
	s_mov_b32 s31, 0x3fedeba7
	s_wait_alu 0xfffe
	s_mov_b32 s28, s42
	s_mov_b32 s38, s16
	;; [unrolled: 1-line block ×8, first 2 shown]
	global_wb scope:SCOPE_SE
	s_wait_storecnt 0x0
	s_barrier_signal -1
	s_barrier_wait -1
	global_inv scope:SCOPE_SE
	s_wait_alu 0xfffe
	v_mul_f64_e32 v[154:155], s[36:37], v[102:103]
	v_mul_f64_e32 v[84:85], s[22:23], v[18:19]
	;; [unrolled: 1-line block ×5, first 2 shown]
	v_add_f64_e32 v[60:61], v[60:61], v[24:25]
	v_add_f64_e32 v[62:63], v[62:63], v[26:27]
	;; [unrolled: 1-line block ×3, first 2 shown]
	v_add_f64_e64 v[20:21], v[20:21], -v[28:29]
	v_fma_f64 v[94:95], v[16:17], s[38:39], v[84:85]
	v_fma_f64 v[84:85], v[16:17], s[16:17], v[84:85]
	;; [unrolled: 1-line block ×8, first 2 shown]
	v_add_f64_e32 v[60:61], v[60:61], v[32:33]
	v_add_f64_e32 v[62:63], v[62:63], v[34:35]
	;; [unrolled: 1-line block ×3, first 2 shown]
	v_add_f64_e64 v[24:25], v[24:25], -v[36:37]
	v_add_f64_e32 v[94:95], v[10:11], v[94:95]
	v_add_f64_e32 v[116:117], v[10:11], v[84:85]
	;; [unrolled: 1-line block ×8, first 2 shown]
	v_add_f64_e64 v[32:33], v[32:33], -v[44:45]
	s_delay_alu instid0(VALU_DEP_4) | instskip(NEXT) | instid1(VALU_DEP_4)
	v_add_f64_e32 v[60:61], v[60:61], v[52:53]
	v_add_f64_e32 v[62:63], v[62:63], v[54:55]
	v_add_f64_e64 v[52:53], v[52:53], -v[56:57]
	s_delay_alu instid0(VALU_DEP_3) | instskip(NEXT) | instid1(VALU_DEP_3)
	v_add_f64_e32 v[60:61], v[60:61], v[56:57]
	v_add_f64_e32 v[62:63], v[62:63], v[58:59]
	s_delay_alu instid0(VALU_DEP_2) | instskip(NEXT) | instid1(VALU_DEP_2)
	v_add_f64_e32 v[60:61], v[60:61], v[48:49]
	v_add_f64_e32 v[62:63], v[62:63], v[50:51]
	s_delay_alu instid0(VALU_DEP_2) | instskip(NEXT) | instid1(VALU_DEP_2)
	v_add_f64_e32 v[60:61], v[60:61], v[44:45]
	v_add_f64_e32 v[62:63], v[62:63], v[46:47]
	v_mul_f64_e32 v[44:45], s[8:9], v[68:69]
	v_mul_f64_e32 v[46:47], s[0:1], v[68:69]
	s_delay_alu instid0(VALU_DEP_4) | instskip(NEXT) | instid1(VALU_DEP_4)
	v_add_f64_e32 v[60:61], v[60:61], v[36:37]
	v_add_f64_e32 v[62:63], v[62:63], v[38:39]
	v_mul_f64_e32 v[36:37], s[18:19], v[68:69]
	v_mul_f64_e32 v[38:39], s[14:15], v[68:69]
	s_delay_alu instid0(VALU_DEP_4) | instskip(NEXT) | instid1(VALU_DEP_4)
	v_add_f64_e32 v[82:83], v[60:61], v[28:29]
	v_add_f64_e32 v[62:63], v[62:63], v[30:31]
	v_mul_f64_e32 v[28:29], s[42:43], v[68:69]
	v_mul_f64_e32 v[30:31], s[16:17], v[68:69]
	v_add_f64_e32 v[60:61], v[54:55], v[58:59]
	v_add_f64_e64 v[58:59], v[54:55], -v[58:59]
	v_add_f64_e32 v[54:55], v[40:41], v[48:49]
	v_add_f64_e64 v[40:41], v[40:41], -v[48:49]
	v_fma_f64 v[56:57], v[22:23], s[24:25], v[36:37]
	v_fma_f64 v[36:37], v[22:23], s[24:25], -v[36:37]
	v_fma_f64 v[68:69], v[22:23], s[12:13], v[44:45]
	v_fma_f64 v[44:45], v[22:23], s[12:13], -v[44:45]
	v_add_f64_e32 v[12:13], v[82:83], v[12:13]
	v_add_f64_e32 v[14:15], v[62:63], v[14:15]
	v_fma_f64 v[48:49], v[22:23], s[26:27], v[28:29]
	v_fma_f64 v[28:29], v[22:23], s[26:27], -v[28:29]
	v_fma_f64 v[50:51], v[22:23], s[22:23], v[30:31]
	v_fma_f64 v[30:31], v[22:23], s[22:23], -v[30:31]
	;; [unrolled: 2-line block ×4, first 2 shown]
	v_mul_f64_e32 v[22:23], s[26:27], v[18:19]
	v_mul_f64_e32 v[18:19], s[2:3], v[18:19]
	v_add_f64_e32 v[118:119], v[8:9], v[56:57]
	v_add_f64_e32 v[90:91], v[8:9], v[68:69]
	v_mul_f64_e32 v[68:69], s[22:23], v[96:97]
	v_mul_f64_e32 v[56:57], s[24:25], v[78:79]
	;; [unrolled: 1-line block ×6, first 2 shown]
	v_add_f64_e32 v[48:49], v[8:9], v[48:49]
	v_add_f64_e32 v[112:113], v[8:9], v[50:51]
	;; [unrolled: 1-line block ×4, first 2 shown]
	v_mul_f64_e32 v[62:63], s[16:17], v[102:103]
	v_add_f64_e32 v[30:31], v[8:9], v[38:39]
	v_add_f64_e32 v[106:107], v[8:9], v[82:83]
	v_fma_f64 v[92:93], v[16:17], s[28:29], v[22:23]
	v_fma_f64 v[22:23], v[16:17], s[42:43], v[22:23]
	;; [unrolled: 1-line block ×4, first 2 shown]
	v_add_f64_e32 v[16:17], v[8:9], v[28:29]
	v_add_f64_e32 v[28:29], v[10:11], v[86:87]
	;; [unrolled: 1-line block ×4, first 2 shown]
	v_mul_f64_e32 v[50:51], s[18:19], v[80:81]
	v_mul_f64_e32 v[46:47], s[14:15], v[76:77]
	v_add_f64_e32 v[92:93], v[10:11], v[92:93]
	v_add_f64_e32 v[18:19], v[10:11], v[22:23]
	v_add_f64_e32 v[22:23], v[8:9], v[36:37]
	v_fma_f64 v[8:9], v[26:27], s[22:23], v[62:63]
	v_add_f64_e32 v[36:37], v[10:11], v[88:89]
	v_add_f64_e32 v[88:89], v[10:11], v[104:105]
	;; [unrolled: 1-line block ×4, first 2 shown]
	v_fma_f64 v[10:11], v[20:21], s[38:39], v[68:69]
	v_fma_f64 v[38:39], v[34:35], s[24:25], v[50:51]
	v_mul_f64_e32 v[108:109], s[14:15], v[102:103]
	v_mul_f64_e32 v[110:111], s[20:21], v[96:97]
	v_add_f64_e32 v[8:9], v[8:9], v[48:49]
	v_mul_f64_e32 v[48:49], s[20:21], v[74:75]
	v_add_f64_e32 v[10:11], v[10:11], v[92:93]
	s_delay_alu instid0(VALU_DEP_3) | instskip(SKIP_1) | instid1(VALU_DEP_1)
	v_add_f64_e32 v[8:9], v[38:39], v[8:9]
	v_fma_f64 v[38:39], v[24:25], s[34:35], v[56:57]
	v_add_f64_e32 v[10:11], v[38:39], v[10:11]
	v_fma_f64 v[38:39], v[42:43], s[20:21], v[46:47]
	s_delay_alu instid0(VALU_DEP_1) | instskip(SKIP_1) | instid1(VALU_DEP_1)
	v_add_f64_e32 v[8:9], v[38:39], v[8:9]
	v_fma_f64 v[38:39], v[32:33], s[30:31], v[48:49]
	v_add_f64_e32 v[10:11], v[38:39], v[10:11]
	v_mul_f64_e32 v[38:39], s[8:9], v[72:73]
	s_delay_alu instid0(VALU_DEP_1) | instskip(NEXT) | instid1(VALU_DEP_1)
	v_fma_f64 v[44:45], v[54:55], s[12:13], v[38:39]
	v_add_f64_e32 v[8:9], v[44:45], v[8:9]
	v_mul_f64_e32 v[44:45], s[12:13], v[70:71]
	s_delay_alu instid0(VALU_DEP_1) | instskip(NEXT) | instid1(VALU_DEP_1)
	v_fma_f64 v[82:83], v[40:41], s[36:37], v[44:45]
	v_add_f64_e32 v[10:11], v[82:83], v[10:11]
	v_mul_f64_e32 v[82:83], s[0:1], v[58:59]
	s_delay_alu instid0(VALU_DEP_1) | instskip(NEXT) | instid1(VALU_DEP_1)
	v_fma_f64 v[92:93], v[66:67], s[2:3], v[82:83]
	v_add_f64_e32 v[8:9], v[92:93], v[8:9]
	v_fma_f64 v[92:93], v[52:53], s[40:41], v[126:127]
	s_delay_alu instid0(VALU_DEP_1) | instskip(SKIP_2) | instid1(VALU_DEP_2)
	v_add_f64_e32 v[10:11], v[92:93], v[10:11]
	v_fma_f64 v[92:93], v[26:27], s[20:21], v[108:109]
	v_fma_f64 v[108:109], v[26:27], s[20:21], -v[108:109]
	v_add_f64_e32 v[92:93], v[92:93], v[112:113]
	v_fma_f64 v[112:113], v[20:21], s[30:31], v[110:111]
	s_delay_alu instid0(VALU_DEP_3) | instskip(SKIP_1) | instid1(VALU_DEP_3)
	v_add_f64_e32 v[108:109], v[108:109], v[114:115]
	v_fma_f64 v[110:111], v[20:21], s[14:15], v[110:111]
	v_add_f64_e32 v[94:95], v[112:113], v[94:95]
	v_mul_f64_e32 v[112:113], s[0:1], v[80:81]
	s_delay_alu instid0(VALU_DEP_3) | instskip(NEXT) | instid1(VALU_DEP_2)
	v_add_f64_e32 v[110:111], v[110:111], v[116:117]
	v_fma_f64 v[128:129], v[34:35], s[2:3], v[112:113]
	v_fma_f64 v[112:113], v[34:35], s[2:3], -v[112:113]
	s_delay_alu instid0(VALU_DEP_2) | instskip(SKIP_1) | instid1(VALU_DEP_3)
	v_add_f64_e32 v[92:93], v[128:129], v[92:93]
	v_mul_f64_e32 v[128:129], s[2:3], v[78:79]
	v_add_f64_e32 v[108:109], v[112:113], v[108:109]
	s_delay_alu instid0(VALU_DEP_2) | instskip(SKIP_2) | instid1(VALU_DEP_3)
	v_fma_f64 v[130:131], v[24:25], s[40:41], v[128:129]
	v_fma_f64 v[112:113], v[24:25], s[0:1], v[128:129]
	v_mul_f64_e32 v[128:129], s[0:1], v[102:103]
	v_add_f64_e32 v[94:95], v[130:131], v[94:95]
	v_mul_f64_e32 v[130:131], s[36:37], v[76:77]
	s_delay_alu instid0(VALU_DEP_4) | instskip(NEXT) | instid1(VALU_DEP_2)
	v_add_f64_e32 v[110:111], v[112:113], v[110:111]
	v_fma_f64 v[132:133], v[42:43], s[12:13], v[130:131]
	v_fma_f64 v[112:113], v[42:43], s[12:13], -v[130:131]
	v_mul_f64_e32 v[130:131], s[2:3], v[96:97]
	s_delay_alu instid0(VALU_DEP_3) | instskip(SKIP_1) | instid1(VALU_DEP_4)
	v_add_f64_e32 v[92:93], v[132:133], v[92:93]
	v_mul_f64_e32 v[132:133], s[12:13], v[74:75]
	v_add_f64_e32 v[108:109], v[112:113], v[108:109]
	s_delay_alu instid0(VALU_DEP_2) | instskip(SKIP_2) | instid1(VALU_DEP_3)
	v_fma_f64 v[134:135], v[32:33], s[8:9], v[132:133]
	v_fma_f64 v[112:113], v[32:33], s[36:37], v[132:133]
	v_mul_f64_e32 v[132:133], s[20:21], v[78:79]
	v_add_f64_e32 v[94:95], v[134:135], v[94:95]
	v_mul_f64_e32 v[134:135], s[34:35], v[72:73]
	s_delay_alu instid0(VALU_DEP_4) | instskip(NEXT) | instid1(VALU_DEP_2)
	v_add_f64_e32 v[110:111], v[112:113], v[110:111]
	v_fma_f64 v[136:137], v[54:55], s[24:25], v[134:135]
	v_fma_f64 v[112:113], v[54:55], s[24:25], -v[134:135]
	v_mul_f64_e32 v[134:135], s[28:29], v[76:77]
	s_delay_alu instid0(VALU_DEP_3) | instskip(SKIP_1) | instid1(VALU_DEP_4)
	;; [unrolled: 15-line block ×3, first 2 shown]
	v_add_f64_e32 v[92:93], v[140:141], v[92:93]
	v_mul_f64_e32 v[140:141], s[26:27], v[60:61]
	v_add_f64_e32 v[108:109], v[112:113], v[108:109]
	v_fma_f64 v[112:113], v[26:27], s[2:3], v[128:129]
	s_delay_alu instid0(VALU_DEP_3) | instskip(SKIP_1) | instid1(VALU_DEP_3)
	v_fma_f64 v[114:115], v[52:53], s[28:29], v[140:141]
	v_fma_f64 v[142:143], v[52:53], s[42:43], v[140:141]
	v_add_f64_e32 v[112:113], v[112:113], v[118:119]
	v_mul_f64_e32 v[140:141], s[22:23], v[70:71]
	s_delay_alu instid0(VALU_DEP_4) | instskip(SKIP_3) | instid1(VALU_DEP_3)
	v_add_f64_e32 v[110:111], v[114:115], v[110:111]
	v_fma_f64 v[114:115], v[20:21], s[40:41], v[130:131]
	v_add_f64_e32 v[94:95], v[142:143], v[94:95]
	v_mul_f64_e32 v[142:143], s[8:9], v[58:59]
	v_add_f64_e32 v[114:115], v[114:115], v[120:121]
	v_mul_f64_e32 v[120:121], s[30:31], v[80:81]
	s_delay_alu instid0(VALU_DEP_1) | instskip(NEXT) | instid1(VALU_DEP_1)
	v_fma_f64 v[116:117], v[34:35], s[20:21], v[120:121]
	v_add_f64_e32 v[112:113], v[116:117], v[112:113]
	v_fma_f64 v[116:117], v[24:25], s[14:15], v[132:133]
	s_delay_alu instid0(VALU_DEP_1) | instskip(SKIP_1) | instid1(VALU_DEP_1)
	v_add_f64_e32 v[114:115], v[116:117], v[114:115]
	v_fma_f64 v[116:117], v[42:43], s[26:27], v[134:135]
	v_add_f64_e32 v[112:113], v[116:117], v[112:113]
	v_fma_f64 v[116:117], v[32:33], s[42:43], v[136:137]
	s_delay_alu instid0(VALU_DEP_1) | instskip(SKIP_1) | instid1(VALU_DEP_1)
	v_add_f64_e32 v[114:115], v[116:117], v[114:115]
	;; [unrolled: 5-line block ×4, first 2 shown]
	v_fma_f64 v[116:117], v[26:27], s[12:13], v[154:155]
	v_add_f64_e32 v[116:117], v[116:117], v[122:123]
	v_mul_f64_e32 v[122:123], s[12:13], v[96:97]
	s_delay_alu instid0(VALU_DEP_1) | instskip(NEXT) | instid1(VALU_DEP_1)
	v_fma_f64 v[118:119], v[20:21], s[8:9], v[122:123]
	v_add_f64_e32 v[118:119], v[118:119], v[124:125]
	v_mul_f64_e32 v[124:125], s[28:29], v[80:81]
	s_delay_alu instid0(VALU_DEP_1) | instskip(NEXT) | instid1(VALU_DEP_1)
	;; [unrolled: 4-line block ×9, first 2 shown]
	v_fma_f64 v[170:171], v[52:53], s[16:17], v[168:169]
	v_add_f64_e32 v[118:119], v[170:171], v[118:119]
	v_mul_f64_e32 v[170:171], s[34:35], v[102:103]
	v_mul_f64_e32 v[102:103], s[28:29], v[102:103]
	s_delay_alu instid0(VALU_DEP_2) | instskip(SKIP_1) | instid1(VALU_DEP_2)
	v_fma_f64 v[172:173], v[26:27], s[24:25], v[170:171]
	v_fma_f64 v[170:171], v[26:27], s[24:25], -v[170:171]
	v_add_f64_e32 v[90:91], v[172:173], v[90:91]
	v_mul_f64_e32 v[172:173], s[24:25], v[96:97]
	s_delay_alu instid0(VALU_DEP_3) | instskip(SKIP_1) | instid1(VALU_DEP_3)
	v_add_f64_e32 v[86:87], v[170:171], v[86:87]
	v_mul_f64_e32 v[96:97], s[26:27], v[96:97]
	v_fma_f64 v[174:175], v[20:21], s[18:19], v[172:173]
	v_fma_f64 v[170:171], v[20:21], s[34:35], v[172:173]
	;; [unrolled: 1-line block ×3, first 2 shown]
	s_delay_alu instid0(VALU_DEP_3) | instskip(SKIP_1) | instid1(VALU_DEP_4)
	v_add_f64_e32 v[88:89], v[174:175], v[88:89]
	v_mul_f64_e32 v[174:175], s[16:17], v[80:81]
	v_add_f64_e32 v[84:85], v[170:171], v[84:85]
	v_mul_f64_e32 v[80:81], s[8:9], v[80:81]
	s_delay_alu instid0(VALU_DEP_3) | instskip(SKIP_1) | instid1(VALU_DEP_2)
	v_fma_f64 v[176:177], v[34:35], s[22:23], v[174:175]
	v_fma_f64 v[170:171], v[34:35], s[22:23], -v[174:175]
	v_add_f64_e32 v[90:91], v[176:177], v[90:91]
	v_mul_f64_e32 v[176:177], s[22:23], v[78:79]
	s_delay_alu instid0(VALU_DEP_3) | instskip(SKIP_1) | instid1(VALU_DEP_3)
	v_add_f64_e32 v[86:87], v[170:171], v[86:87]
	v_mul_f64_e32 v[78:79], s[12:13], v[78:79]
	v_fma_f64 v[178:179], v[24:25], s[38:39], v[176:177]
	v_fma_f64 v[170:171], v[24:25], s[16:17], v[176:177]
	s_delay_alu instid0(VALU_DEP_2) | instskip(SKIP_1) | instid1(VALU_DEP_3)
	v_add_f64_e32 v[88:89], v[178:179], v[88:89]
	v_mul_f64_e32 v[178:179], s[40:41], v[76:77]
	v_add_f64_e32 v[84:85], v[170:171], v[84:85]
	v_mul_f64_e32 v[76:77], s[38:39], v[76:77]
	s_delay_alu instid0(VALU_DEP_3) | instskip(SKIP_1) | instid1(VALU_DEP_2)
	v_fma_f64 v[180:181], v[42:43], s[2:3], v[178:179]
	v_fma_f64 v[170:171], v[42:43], s[2:3], -v[178:179]
	v_add_f64_e32 v[90:91], v[180:181], v[90:91]
	v_mul_f64_e32 v[180:181], s[2:3], v[74:75]
	s_delay_alu instid0(VALU_DEP_3) | instskip(SKIP_1) | instid1(VALU_DEP_3)
	v_add_f64_e32 v[86:87], v[170:171], v[86:87]
	v_mul_f64_e32 v[74:75], s[22:23], v[74:75]
	v_fma_f64 v[182:183], v[32:33], s[0:1], v[180:181]
	v_fma_f64 v[170:171], v[32:33], s[40:41], v[180:181]
	s_delay_alu instid0(VALU_DEP_2) | instskip(SKIP_1) | instid1(VALU_DEP_3)
	;; [unrolled: 15-line block ×3, first 2 shown]
	v_add_f64_e32 v[170:171], v[170:171], v[84:85]
	v_fma_f64 v[84:85], v[66:67], s[20:21], -v[188:189]
	v_add_f64_e32 v[186:187], v[186:187], v[88:89]
	v_fma_f64 v[88:89], v[66:67], s[20:21], v[188:189]
	s_delay_alu instid0(VALU_DEP_3)
	v_add_f64_e32 v[84:85], v[84:85], v[86:87]
	v_add_f64_e32 v[86:87], v[172:173], v[170:171]
	v_fma_f64 v[170:171], v[26:27], s[26:27], v[102:103]
	v_fma_f64 v[102:103], v[26:27], s[26:27], -v[102:103]
	v_mul_f64_e32 v[172:173], s[24:25], v[60:61]
	v_add_f64_e32 v[88:89], v[88:89], v[90:91]
	v_fma_f64 v[90:91], v[52:53], s[30:31], v[190:191]
	v_add_f64_e32 v[106:107], v[170:171], v[106:107]
	v_fma_f64 v[170:171], v[20:21], s[42:43], v[96:97]
	v_fma_f64 v[96:97], v[20:21], s[28:29], v[96:97]
	v_add_f64_e32 v[100:101], v[102:103], v[100:101]
	v_fma_f64 v[60:61], v[52:53], s[18:19], v[172:173]
	v_add_f64_e32 v[90:91], v[90:91], v[186:187]
	v_add_f64_e32 v[104:105], v[170:171], v[104:105]
	v_fma_f64 v[170:171], v[34:35], s[12:13], v[80:81]
	v_add_f64_e32 v[96:97], v[96:97], v[98:99]
	v_fma_f64 v[80:81], v[34:35], s[12:13], -v[80:81]
	s_delay_alu instid0(VALU_DEP_3) | instskip(SKIP_2) | instid1(VALU_DEP_4)
	v_add_f64_e32 v[106:107], v[170:171], v[106:107]
	v_fma_f64 v[170:171], v[24:25], s[36:37], v[78:79]
	v_fma_f64 v[78:79], v[24:25], s[8:9], v[78:79]
	v_add_f64_e32 v[80:81], v[80:81], v[100:101]
	s_delay_alu instid0(VALU_DEP_3) | instskip(SKIP_1) | instid1(VALU_DEP_4)
	v_add_f64_e32 v[104:105], v[170:171], v[104:105]
	v_fma_f64 v[170:171], v[42:43], s[22:23], v[76:77]
	v_add_f64_e32 v[78:79], v[78:79], v[96:97]
	v_fma_f64 v[76:77], v[42:43], s[22:23], -v[76:77]
	v_fma_f64 v[96:97], v[24:25], s[28:29], v[156:157]
	s_delay_alu instid0(VALU_DEP_4) | instskip(SKIP_4) | instid1(VALU_DEP_4)
	v_add_f64_e32 v[106:107], v[170:171], v[106:107]
	v_fma_f64 v[170:171], v[32:33], s[16:17], v[74:75]
	v_fma_f64 v[74:75], v[32:33], s[38:39], v[74:75]
	v_add_f64_e32 v[76:77], v[76:77], v[80:81]
	v_fma_f64 v[80:81], v[34:35], s[26:27], -v[124:125]
	v_add_f64_e32 v[104:105], v[170:171], v[104:105]
	v_fma_f64 v[170:171], v[54:55], s[20:21], v[72:73]
	v_add_f64_e32 v[74:75], v[74:75], v[78:79]
	v_fma_f64 v[72:73], v[54:55], s[20:21], -v[72:73]
	v_fma_f64 v[78:79], v[20:21], s[36:37], v[122:123]
	s_delay_alu instid0(VALU_DEP_4)
	v_add_f64_e32 v[106:107], v[170:171], v[106:107]
	v_fma_f64 v[170:171], v[40:41], s[30:31], v[70:71]
	v_fma_f64 v[70:71], v[40:41], s[14:15], v[70:71]
	v_add_f64_e32 v[72:73], v[72:73], v[76:77]
	v_fma_f64 v[76:77], v[52:53], s[34:35], v[172:173]
	v_add_f64_e32 v[36:37], v[78:79], v[36:37]
	v_add_f64_e32 v[104:105], v[170:171], v[104:105]
	v_mul_f64_e32 v[170:171], s[34:35], v[58:59]
	v_add_f64_e32 v[74:75], v[70:71], v[74:75]
	s_delay_alu instid0(VALU_DEP_4) | instskip(NEXT) | instid1(VALU_DEP_4)
	v_add_f64_e32 v[36:37], v[96:97], v[36:37]
	v_add_f64_e32 v[60:61], v[60:61], v[104:105]
	s_delay_alu instid0(VALU_DEP_4) | instskip(SKIP_1) | instid1(VALU_DEP_2)
	v_fma_f64 v[70:71], v[66:67], s[24:25], -v[170:171]
	v_fma_f64 v[58:59], v[66:67], s[24:25], v[170:171]
	v_add_f64_e32 v[70:71], v[70:71], v[72:73]
	v_add_f64_e32 v[72:73], v[76:77], v[74:75]
	v_fma_f64 v[74:75], v[26:27], s[2:3], -v[128:129]
	v_fma_f64 v[76:77], v[26:27], s[12:13], -v[154:155]
	;; [unrolled: 1-line block ×3, first 2 shown]
	v_fma_f64 v[62:63], v[20:21], s[0:1], v[130:131]
	v_fma_f64 v[20:21], v[20:21], s[16:17], v[68:69]
	v_fma_f64 v[68:69], v[34:35], s[20:21], -v[120:121]
	v_fma_f64 v[34:35], v[34:35], s[24:25], -v[50:51]
	v_fma_f64 v[50:51], v[24:25], s[30:31], v[132:133]
	v_fma_f64 v[24:25], v[24:25], s[18:19], v[56:57]
	;; [unrolled: 1-line block ×3, first 2 shown]
	v_add_f64_e32 v[58:59], v[58:59], v[106:107]
	v_add_f64_e32 v[22:23], v[74:75], v[22:23]
	;; [unrolled: 1-line block ×6, first 2 shown]
	v_fma_f64 v[20:21], v[42:43], s[26:27], -v[134:135]
	v_fma_f64 v[26:27], v[42:43], s[24:25], -v[158:159]
	;; [unrolled: 1-line block ×3, first 2 shown]
	v_fma_f64 v[46:47], v[32:33], s[28:29], v[136:137]
	v_fma_f64 v[32:33], v[32:33], s[14:15], v[48:49]
	v_add_f64_e32 v[22:23], v[68:69], v[22:23]
	v_add_f64_e32 v[30:31], v[80:81], v[30:31]
	;; [unrolled: 1-line block ×5, first 2 shown]
	v_fma_f64 v[34:35], v[40:41], s[16:17], v[140:141]
	v_add_f64_e32 v[20:21], v[20:21], v[22:23]
	v_add_f64_e32 v[24:25], v[26:27], v[30:31]
	;; [unrolled: 1-line block ×6, first 2 shown]
	v_fma_f64 v[28:29], v[54:55], s[22:23], -v[138:139]
	v_fma_f64 v[30:31], v[54:55], s[2:3], -v[162:163]
	;; [unrolled: 1-line block ×3, first 2 shown]
	v_fma_f64 v[36:37], v[40:41], s[40:41], v[164:165]
	v_fma_f64 v[38:39], v[40:41], s[8:9], v[44:45]
	v_add_f64_e32 v[20:21], v[28:29], v[20:21]
	v_add_f64_e32 v[28:29], v[34:35], v[22:23]
	;; [unrolled: 1-line block ×6, first 2 shown]
	v_fma_f64 v[16:17], v[66:67], s[12:13], -v[142:143]
	v_fma_f64 v[18:19], v[66:67], s[22:23], -v[166:167]
	v_fma_f64 v[34:35], v[52:53], s[38:39], v[168:169]
	v_fma_f64 v[36:37], v[52:53], s[8:9], v[152:153]
	v_fma_f64 v[32:33], v[66:67], s[2:3], -v[82:83]
	v_fma_f64 v[38:39], v[52:53], s[0:1], v[126:127]
	v_add_f64_e32 v[16:17], v[16:17], v[20:21]
	v_add_f64_e32 v[20:21], v[18:19], v[22:23]
	;; [unrolled: 1-line block ×6, first 2 shown]
	ds_store_b128 v65, v[92:95] offset:32
	ds_store_b128 v65, v[112:115] offset:48
	;; [unrolled: 1-line block ×7, first 2 shown]
	ds_store_b128 v65, v[12:15]
	ds_store_b128 v65, v[84:87] offset:128
	ds_store_b128 v65, v[20:23] offset:144
	ds_store_b128 v65, v[16:19] offset:160
	ds_store_b128 v65, v[108:111] offset:176
	ds_store_b128 v65, v[24:27] offset:192
	s_and_saveexec_b32 s33, vcc_lo
	s_cbranch_execz .LBB0_13
; %bb.12:
	s_clause 0x6
	scratch_load_b128 v[107:110], off, off offset:56 th:TH_LOAD_LU
	scratch_load_b128 v[172:175], off, off offset:40 th:TH_LOAD_LU
	;; [unrolled: 1-line block ×7, first 2 shown]
	v_add_f64_e32 v[8:9], v[2:3], v[6:7]
	v_add_f64_e32 v[10:11], v[0:1], v[4:5]
	s_clause 0x1
	scratch_load_b128 v[164:167], off, off offset:8 th:TH_LOAD_LU
	scratch_load_b128 v[168:171], off, off offset:24 th:TH_LOAD_LU
	s_wait_loadcnt 0x8
	v_add_f64_e32 v[8:9], v[8:9], v[109:110]
	v_add_f64_e32 v[10:11], v[10:11], v[107:108]
	s_wait_loadcnt 0x6
	v_add_f64_e64 v[95:96], v[101:102], -v[174:175]
	v_add_f64_e32 v[97:98], v[101:102], v[174:175]
	v_add_f64_e64 v[93:94], v[99:100], -v[172:173]
	s_wait_loadcnt 0x2
	v_add_f64_e64 v[40:41], v[18:19], -v[22:23]
	v_add_f64_e64 v[42:43], v[20:21], -v[24:25]
	v_add_f64_e32 v[44:45], v[20:21], v[24:25]
	v_add_f64_e32 v[46:47], v[18:19], v[22:23]
	s_wait_loadcnt 0x1
	v_add_f64_e64 v[12:13], v[4:5], -v[164:165]
	v_add_f64_e32 v[4:5], v[4:5], v[164:165]
	s_wait_loadcnt 0x0
	v_add_f64_e32 v[105:106], v[109:110], v[170:171]
	v_add_f64_e64 v[103:104], v[109:110], -v[170:171]
	v_add_f64_e32 v[8:9], v[8:9], v[101:102]
	v_add_f64_e32 v[10:11], v[10:11], v[99:100]
	v_add_f64_e64 v[101:102], v[107:108], -v[168:169]
	v_add_f64_e32 v[107:108], v[107:108], v[168:169]
	v_add_f64_e32 v[99:100], v[99:100], v[172:173]
	v_mul_f64_e32 v[121:122], s[0:1], v[93:94]
	v_mul_f64_e32 v[111:112], s[34:35], v[40:41]
	;; [unrolled: 1-line block ×10, first 2 shown]
	v_add_f64_e32 v[8:9], v[8:9], v[91:92]
	v_add_f64_e32 v[10:11], v[10:11], v[89:90]
	v_mul_f64_e32 v[117:118], s[14:15], v[101:102]
	v_mul_f64_e32 v[137:138], s[0:1], v[101:102]
	s_delay_alu instid0(VALU_DEP_4) | instskip(NEXT) | instid1(VALU_DEP_4)
	v_add_f64_e32 v[8:9], v[8:9], v[16:17]
	v_add_f64_e32 v[10:11], v[10:11], v[14:15]
	s_delay_alu instid0(VALU_DEP_2) | instskip(NEXT) | instid1(VALU_DEP_2)
	v_add_f64_e32 v[8:9], v[8:9], v[20:21]
	v_add_f64_e32 v[10:11], v[10:11], v[18:19]
	scratch_load_b128 v[18:21], off, off offset:136 th:TH_LOAD_LU ; 16-byte Folded Reload
	v_add_f64_e32 v[8:9], v[8:9], v[24:25]
	v_add_f64_e32 v[10:11], v[10:11], v[22:23]
	v_mul_f64_e32 v[22:23], s[18:19], v[12:13]
	v_mul_f64_e32 v[24:25], s[16:17], v[12:13]
	s_wait_loadcnt 0x0
	v_add_f64_e64 v[48:49], v[14:15], -v[18:19]
	v_add_f64_e64 v[50:51], v[16:17], -v[20:21]
	v_add_f64_e32 v[52:53], v[16:17], v[20:21]
	v_add_f64_e32 v[54:55], v[14:15], v[18:19]
	;; [unrolled: 1-line block ×3, first 2 shown]
	v_mul_f64_e32 v[16:17], s[0:1], v[12:13]
	v_add_f64_e32 v[8:9], v[8:9], v[20:21]
	v_add_f64_e32 v[10:11], v[10:11], v[18:19]
	v_add_f64_e64 v[6:7], v[6:7], -v[166:167]
	v_mul_f64_e32 v[18:19], s[8:9], v[12:13]
	v_mul_f64_e32 v[20:21], s[14:15], v[12:13]
	;; [unrolled: 1-line block ×5, first 2 shown]
	v_fma_f64 v[32:33], v[14:15], s[24:25], v[22:23]
	v_fma_f64 v[26:27], v[14:15], s[2:3], v[16:17]
	v_fma_f64 v[16:17], v[14:15], s[2:3], -v[16:17]
	v_fma_f64 v[22:23], v[14:15], s[24:25], -v[22:23]
	v_fma_f64 v[34:35], v[14:15], s[22:23], v[24:25]
	v_fma_f64 v[28:29], v[14:15], s[12:13], v[18:19]
	v_fma_f64 v[18:19], v[14:15], s[12:13], -v[18:19]
	v_fma_f64 v[30:31], v[14:15], s[20:21], v[20:21]
	v_fma_f64 v[20:21], v[14:15], s[20:21], -v[20:21]
	v_fma_f64 v[24:25], v[14:15], s[22:23], -v[24:25]
	v_fma_f64 v[36:37], v[14:15], s[26:27], v[12:13]
	v_fma_f64 v[12:13], v[14:15], s[26:27], -v[12:13]
	v_mul_f64_e32 v[14:15], s[0:1], v[6:7]
	v_mul_f64_e32 v[38:39], s[8:9], v[6:7]
	;; [unrolled: 1-line block ×6, first 2 shown]
	v_add_f64_e32 v[32:33], v[2:3], v[32:33]
	v_add_f64_e32 v[16:17], v[2:3], v[16:17]
	;; [unrolled: 1-line block ×8, first 2 shown]
	v_fma_f64 v[62:63], v[4:5], s[2:3], -v[14:15]
	v_fma_f64 v[14:15], v[4:5], s[2:3], v[14:15]
	v_fma_f64 v[65:66], v[4:5], s[12:13], -v[38:39]
	v_fma_f64 v[38:39], v[4:5], s[12:13], v[38:39]
	;; [unrolled: 2-line block ×6, first 2 shown]
	v_add_f64_e32 v[6:7], v[2:3], v[26:27]
	v_add_f64_e32 v[26:27], v[0:1], v[62:63]
	;; [unrolled: 1-line block ×16, first 2 shown]
	scratch_load_b128 v[0:3], off, off offset:104 th:TH_LOAD_LU ; 16-byte Folded Reload
	v_mul_f64_e32 v[4:5], s[28:29], v[101:102]
	s_wait_loadcnt 0x0
	v_add_f64_e64 v[83:84], v[89:90], -v[0:1]
	v_add_f64_e64 v[85:86], v[91:92], -v[2:3]
	v_add_f64_e32 v[87:88], v[91:92], v[2:3]
	v_add_f64_e32 v[89:90], v[89:90], v[0:1]
	;; [unrolled: 1-line block ×4, first 2 shown]
	v_fma_f64 v[0:1], v[105:106], s[26:27], v[4:5]
	v_mul_f64_e32 v[8:9], s[8:9], v[93:94]
	v_fma_f64 v[4:5], v[105:106], s[26:27], -v[4:5]
	v_mul_f64_e32 v[125:126], s[36:37], v[83:84]
	v_mul_f64_e32 v[127:128], s[36:37], v[85:86]
	v_add_f64_e32 v[0:1], v[0:1], v[6:7]
	v_mul_f64_e32 v[6:7], s[28:29], v[103:104]
	v_fma_f64 v[10:11], v[97:98], s[12:13], v[8:9]
	v_add_f64_e32 v[4:5], v[4:5], v[16:17]
	v_fma_f64 v[8:9], v[97:98], s[12:13], -v[8:9]
	v_mul_f64_e32 v[16:17], s[16:17], v[93:94]
	v_fma_f64 v[2:3], v[107:108], s[26:27], -v[6:7]
	v_add_f64_e32 v[0:1], v[10:11], v[0:1]
	v_mul_f64_e32 v[10:11], s[8:9], v[95:96]
	v_fma_f64 v[6:7], v[107:108], s[26:27], v[6:7]
	v_add_f64_e32 v[4:5], v[8:9], v[4:5]
	v_add_f64_e32 v[2:3], v[2:3], v[26:27]
	s_delay_alu instid0(VALU_DEP_4) | instskip(NEXT) | instid1(VALU_DEP_4)
	v_fma_f64 v[12:13], v[99:100], s[12:13], -v[10:11]
	v_add_f64_e32 v[6:7], v[6:7], v[14:15]
	v_fma_f64 v[8:9], v[99:100], s[12:13], v[10:11]
	v_fma_f64 v[10:11], v[46:47], s[24:25], v[113:114]
	v_mul_f64_e32 v[14:15], s[34:35], v[103:104]
	v_add_f64_e32 v[2:3], v[12:13], v[2:3]
	v_mul_f64_e32 v[12:13], s[38:39], v[83:84]
	v_add_f64_e32 v[6:7], v[8:9], v[6:7]
	s_delay_alu instid0(VALU_DEP_2) | instskip(SKIP_2) | instid1(VALU_DEP_3)
	v_fma_f64 v[24:25], v[87:88], s[22:23], v[12:13]
	v_fma_f64 v[8:9], v[87:88], s[22:23], -v[12:13]
	v_mul_f64_e32 v[12:13], s[34:35], v[101:102]
	v_add_f64_e32 v[0:1], v[24:25], v[0:1]
	v_mul_f64_e32 v[24:25], s[38:39], v[85:86]
	s_delay_alu instid0(VALU_DEP_4) | instskip(NEXT) | instid1(VALU_DEP_2)
	v_add_f64_e32 v[4:5], v[8:9], v[4:5]
	v_fma_f64 v[26:27], v[89:90], s[22:23], -v[24:25]
	v_fma_f64 v[8:9], v[89:90], s[22:23], v[24:25]
	v_fma_f64 v[24:25], v[97:98], s[22:23], v[16:17]
	v_fma_f64 v[16:17], v[97:98], s[22:23], -v[16:17]
	s_delay_alu instid0(VALU_DEP_4) | instskip(SKIP_2) | instid1(VALU_DEP_2)
	v_add_f64_e32 v[2:3], v[26:27], v[2:3]
	v_mul_f64_e32 v[26:27], s[14:15], v[48:49]
	v_add_f64_e32 v[6:7], v[8:9], v[6:7]
	v_fma_f64 v[34:35], v[52:53], s[20:21], v[26:27]
	v_fma_f64 v[8:9], v[52:53], s[20:21], -v[26:27]
	s_delay_alu instid0(VALU_DEP_2) | instskip(SKIP_1) | instid1(VALU_DEP_3)
	v_add_f64_e32 v[0:1], v[34:35], v[0:1]
	v_mul_f64_e32 v[34:35], s[14:15], v[50:51]
	v_add_f64_e32 v[4:5], v[8:9], v[4:5]
	s_delay_alu instid0(VALU_DEP_2) | instskip(SKIP_1) | instid1(VALU_DEP_2)
	v_fma_f64 v[8:9], v[54:55], s[20:21], v[34:35]
	v_fma_f64 v[109:110], v[54:55], s[20:21], -v[34:35]
	v_add_f64_e32 v[8:9], v[8:9], v[6:7]
	v_fma_f64 v[6:7], v[44:45], s[24:25], -v[111:112]
	s_delay_alu instid0(VALU_DEP_3) | instskip(SKIP_2) | instid1(VALU_DEP_4)
	v_add_f64_e32 v[109:110], v[109:110], v[2:3]
	v_fma_f64 v[2:3], v[44:45], s[24:25], v[111:112]
	v_mul_f64_e32 v[111:112], s[14:15], v[40:41]
	v_add_f64_e32 v[6:7], v[6:7], v[4:5]
	v_add_f64_e32 v[4:5], v[10:11], v[8:9]
	v_fma_f64 v[8:9], v[105:106], s[24:25], v[12:13]
	v_fma_f64 v[10:11], v[107:108], s[24:25], -v[14:15]
	v_fma_f64 v[12:13], v[105:106], s[24:25], -v[12:13]
	v_fma_f64 v[14:15], v[107:108], s[24:25], v[14:15]
	v_add_f64_e32 v[2:3], v[2:3], v[0:1]
	v_fma_f64 v[0:1], v[46:47], s[24:25], -v[113:114]
	v_mul_f64_e32 v[113:114], s[14:15], v[42:43]
	v_mul_f64_e32 v[42:43], s[0:1], v[42:43]
	v_add_f64_e32 v[8:9], v[8:9], v[28:29]
	v_add_f64_e32 v[10:11], v[10:11], v[62:63]
	;; [unrolled: 1-line block ×4, first 2 shown]
	v_mul_f64_e32 v[38:39], s[28:29], v[95:96]
	v_add_f64_e32 v[0:1], v[0:1], v[109:110]
	v_fma_f64 v[18:19], v[46:47], s[20:21], v[113:114]
	v_add_f64_e32 v[8:9], v[24:25], v[8:9]
	v_mul_f64_e32 v[24:25], s[16:17], v[95:96]
	v_add_f64_e32 v[12:13], v[16:17], v[12:13]
	s_delay_alu instid0(VALU_DEP_2) | instskip(SKIP_1) | instid1(VALU_DEP_2)
	v_fma_f64 v[26:27], v[99:100], s[22:23], -v[24:25]
	v_fma_f64 v[16:17], v[99:100], s[22:23], v[24:25]
	v_add_f64_e32 v[10:11], v[26:27], v[10:11]
	v_mul_f64_e32 v[26:27], s[40:41], v[83:84]
	s_delay_alu instid0(VALU_DEP_3) | instskip(NEXT) | instid1(VALU_DEP_2)
	v_add_f64_e32 v[14:15], v[16:17], v[14:15]
	v_fma_f64 v[28:29], v[87:88], s[2:3], v[26:27]
	v_fma_f64 v[16:17], v[87:88], s[2:3], -v[26:27]
	s_delay_alu instid0(VALU_DEP_2) | instskip(SKIP_1) | instid1(VALU_DEP_3)
	v_add_f64_e32 v[8:9], v[28:29], v[8:9]
	v_mul_f64_e32 v[28:29], s[40:41], v[85:86]
	v_add_f64_e32 v[12:13], v[16:17], v[12:13]
	s_delay_alu instid0(VALU_DEP_2) | instskip(SKIP_2) | instid1(VALU_DEP_3)
	v_fma_f64 v[34:35], v[89:90], s[2:3], -v[28:29]
	v_fma_f64 v[16:17], v[89:90], s[2:3], v[28:29]
	v_mul_f64_e32 v[28:29], s[36:37], v[101:102]
	v_add_f64_e32 v[10:11], v[34:35], v[10:11]
	v_mul_f64_e32 v[34:35], s[28:29], v[48:49]
	s_delay_alu instid0(VALU_DEP_4) | instskip(NEXT) | instid1(VALU_DEP_2)
	v_add_f64_e32 v[14:15], v[16:17], v[14:15]
	v_fma_f64 v[62:63], v[52:53], s[26:27], v[34:35]
	v_fma_f64 v[16:17], v[52:53], s[26:27], -v[34:35]
	v_mul_f64_e32 v[34:35], s[28:29], v[93:94]
	s_delay_alu instid0(VALU_DEP_3) | instskip(SKIP_1) | instid1(VALU_DEP_4)
	v_add_f64_e32 v[8:9], v[62:63], v[8:9]
	v_mul_f64_e32 v[62:63], s[28:29], v[50:51]
	v_add_f64_e32 v[12:13], v[16:17], v[12:13]
	s_delay_alu instid0(VALU_DEP_4) | instskip(SKIP_1) | instid1(VALU_DEP_4)
	v_fma_f64 v[24:25], v[97:98], s[26:27], v[34:35]
	v_fma_f64 v[34:35], v[97:98], s[26:27], -v[34:35]
	v_fma_f64 v[16:17], v[54:55], s[26:27], v[62:63]
	v_fma_f64 v[109:110], v[54:55], s[26:27], -v[62:63]
	v_mul_f64_e32 v[62:63], s[18:19], v[83:84]
	s_delay_alu instid0(VALU_DEP_3) | instskip(SKIP_1) | instid1(VALU_DEP_4)
	v_add_f64_e32 v[16:17], v[16:17], v[14:15]
	v_fma_f64 v[14:15], v[44:45], s[20:21], -v[111:112]
	v_add_f64_e32 v[109:110], v[109:110], v[10:11]
	v_fma_f64 v[10:11], v[44:45], s[20:21], v[111:112]
	v_mul_f64_e32 v[111:112], s[40:41], v[50:51]
	s_delay_alu instid0(VALU_DEP_4)
	v_add_f64_e32 v[14:15], v[14:15], v[12:13]
	v_add_f64_e32 v[12:13], v[18:19], v[16:17]
	v_fma_f64 v[16:17], v[105:106], s[12:13], v[28:29]
	v_add_f64_e32 v[10:11], v[10:11], v[8:9]
	v_fma_f64 v[8:9], v[46:47], s[20:21], -v[113:114]
	v_mul_f64_e32 v[113:114], s[38:39], v[40:41]
	v_fma_f64 v[28:29], v[105:106], s[12:13], -v[28:29]
	v_mul_f64_e32 v[40:41], s[0:1], v[40:41]
	v_add_f64_e32 v[16:17], v[16:17], v[30:31]
	v_mul_f64_e32 v[30:31], s[36:37], v[103:104]
	v_add_f64_e32 v[8:9], v[8:9], v[109:110]
	v_mul_f64_e32 v[109:110], s[40:41], v[48:49]
	v_add_f64_e32 v[28:29], v[28:29], v[67:68]
	v_mul_f64_e32 v[67:68], s[16:17], v[101:102]
	v_add_f64_e32 v[16:17], v[24:25], v[16:17]
	v_fma_f64 v[18:19], v[107:108], s[12:13], -v[30:31]
	v_fma_f64 v[24:25], v[99:100], s[26:27], -v[38:39]
	v_fma_f64 v[30:31], v[107:108], s[12:13], v[30:31]
	v_add_f64_e32 v[28:29], v[34:35], v[28:29]
	v_fma_f64 v[34:35], v[99:100], s[26:27], v[38:39]
	v_fma_f64 v[38:39], v[46:47], s[22:23], v[115:116]
	v_add_f64_e32 v[18:19], v[18:19], v[65:66]
	v_mul_f64_e32 v[65:66], s[18:19], v[85:86]
	v_add_f64_e32 v[30:31], v[30:31], v[56:57]
	v_fma_f64 v[56:57], v[46:47], s[12:13], -v[162:163]
	s_delay_alu instid0(VALU_DEP_4) | instskip(SKIP_1) | instid1(VALU_DEP_4)
	v_add_f64_e32 v[18:19], v[24:25], v[18:19]
	v_fma_f64 v[24:25], v[87:88], s[24:25], v[62:63]
	v_add_f64_e32 v[30:31], v[34:35], v[30:31]
	v_fma_f64 v[34:35], v[87:88], s[24:25], -v[62:63]
	v_fma_f64 v[62:63], v[97:98], s[2:3], v[121:122]
	s_delay_alu instid0(VALU_DEP_4) | instskip(SKIP_1) | instid1(VALU_DEP_4)
	v_add_f64_e32 v[16:17], v[24:25], v[16:17]
	v_fma_f64 v[24:25], v[89:90], s[24:25], -v[65:66]
	v_add_f64_e32 v[28:29], v[34:35], v[28:29]
	v_fma_f64 v[34:35], v[89:90], s[24:25], v[65:66]
	v_fma_f64 v[65:66], v[46:47], s[26:27], -v[135:136]
	s_delay_alu instid0(VALU_DEP_4) | instskip(SKIP_1) | instid1(VALU_DEP_4)
	v_add_f64_e32 v[18:19], v[24:25], v[18:19]
	v_fma_f64 v[24:25], v[52:53], s[2:3], v[109:110]
	v_add_f64_e32 v[30:31], v[34:35], v[30:31]
	v_fma_f64 v[34:35], v[52:53], s[2:3], -v[109:110]
	s_delay_alu instid0(VALU_DEP_3) | instskip(SKIP_1) | instid1(VALU_DEP_3)
	v_add_f64_e32 v[16:17], v[24:25], v[16:17]
	v_fma_f64 v[24:25], v[54:55], s[2:3], -v[111:112]
	v_add_f64_e32 v[28:29], v[34:35], v[28:29]
	v_fma_f64 v[34:35], v[54:55], s[2:3], v[111:112]
	s_delay_alu instid0(VALU_DEP_3) | instskip(SKIP_1) | instid1(VALU_DEP_3)
	v_add_f64_e32 v[24:25], v[24:25], v[18:19]
	v_fma_f64 v[18:19], v[44:45], s[22:23], v[113:114]
	v_add_f64_e32 v[34:35], v[34:35], v[30:31]
	v_fma_f64 v[30:31], v[44:45], s[22:23], -v[113:114]
	s_delay_alu instid0(VALU_DEP_3) | instskip(SKIP_1) | instid1(VALU_DEP_3)
	v_add_f64_e32 v[18:19], v[18:19], v[16:17]
	v_fma_f64 v[16:17], v[46:47], s[22:23], -v[115:116]
	v_add_f64_e32 v[30:31], v[30:31], v[28:29]
	v_add_f64_e32 v[28:29], v[38:39], v[34:35]
	v_fma_f64 v[34:35], v[105:106], s[2:3], v[137:138]
	s_delay_alu instid0(VALU_DEP_4) | instskip(SKIP_1) | instid1(VALU_DEP_3)
	v_add_f64_e32 v[16:17], v[16:17], v[24:25]
	v_fma_f64 v[24:25], v[105:106], s[20:21], -v[117:118]
	v_add_f64_e32 v[32:33], v[34:35], v[32:33]
	s_delay_alu instid0(VALU_DEP_2) | instskip(SKIP_1) | instid1(VALU_DEP_1)
	v_add_f64_e32 v[20:21], v[24:25], v[20:21]
	v_fma_f64 v[24:25], v[107:108], s[20:21], v[119:120]
	v_add_f64_e32 v[22:23], v[24:25], v[22:23]
	v_fma_f64 v[24:25], v[97:98], s[2:3], -v[121:122]
	s_delay_alu instid0(VALU_DEP_1) | instskip(SKIP_1) | instid1(VALU_DEP_1)
	v_add_f64_e32 v[20:21], v[24:25], v[20:21]
	v_fma_f64 v[24:25], v[99:100], s[2:3], v[123:124]
	v_add_f64_e32 v[22:23], v[24:25], v[22:23]
	v_fma_f64 v[24:25], v[87:88], s[12:13], -v[125:126]
	s_delay_alu instid0(VALU_DEP_1) | instskip(SKIP_1) | instid1(VALU_DEP_1)
	;; [unrolled: 5-line block ×5, first 2 shown]
	v_add_f64_e32 v[24:25], v[24:25], v[75:76]
	v_mul_f64_e32 v[75:76], s[0:1], v[103:104]
	v_fma_f64 v[26:27], v[107:108], s[2:3], v[75:76]
	v_fma_f64 v[34:35], v[107:108], s[2:3], -v[75:76]
	s_delay_alu instid0(VALU_DEP_2) | instskip(SKIP_1) | instid1(VALU_DEP_3)
	v_add_f64_e32 v[26:27], v[26:27], v[58:59]
	v_mul_f64_e32 v[58:59], s[30:31], v[93:94]
	v_add_f64_e32 v[34:35], v[34:35], v[69:70]
	v_fma_f64 v[69:70], v[105:106], s[22:23], v[67:68]
	v_fma_f64 v[67:68], v[105:106], s[22:23], -v[67:68]
	s_delay_alu instid0(VALU_DEP_4)
	v_fma_f64 v[139:140], v[97:98], s[20:21], -v[58:59]
	v_fma_f64 v[38:39], v[97:98], s[20:21], v[58:59]
	v_add_f64_e32 v[58:59], v[91:92], v[172:173]
	v_add_f64_e32 v[60:61], v[69:70], v[60:61]
	v_add_f64_e32 v[67:68], v[67:68], v[79:80]
	v_add_f64_e32 v[24:25], v[139:140], v[24:25]
	v_mul_f64_e32 v[139:140], s[30:31], v[95:96]
	v_add_f64_e32 v[32:33], v[38:39], v[32:33]
	v_add_f64_e32 v[58:59], v[58:59], v[168:169]
	s_delay_alu instid0(VALU_DEP_3) | instskip(SKIP_1) | instid1(VALU_DEP_2)
	v_fma_f64 v[141:142], v[99:100], s[20:21], v[139:140]
	v_fma_f64 v[38:39], v[99:100], s[20:21], -v[139:140]
	v_add_f64_e32 v[26:27], v[141:142], v[26:27]
	v_mul_f64_e32 v[141:142], s[28:29], v[83:84]
	s_delay_alu instid0(VALU_DEP_3) | instskip(SKIP_1) | instid1(VALU_DEP_3)
	v_add_f64_e32 v[34:35], v[38:39], v[34:35]
	v_mul_f64_e32 v[83:84], s[14:15], v[83:84]
	v_fma_f64 v[152:153], v[87:88], s[26:27], -v[141:142]
	v_fma_f64 v[38:39], v[87:88], s[26:27], v[141:142]
	s_delay_alu instid0(VALU_DEP_2) | instskip(SKIP_1) | instid1(VALU_DEP_3)
	v_add_f64_e32 v[24:25], v[152:153], v[24:25]
	v_mul_f64_e32 v[152:153], s[28:29], v[85:86]
	v_add_f64_e32 v[32:33], v[38:39], v[32:33]
	v_mul_f64_e32 v[85:86], s[14:15], v[85:86]
	s_delay_alu instid0(VALU_DEP_3) | instskip(SKIP_1) | instid1(VALU_DEP_2)
	v_fma_f64 v[154:155], v[89:90], s[26:27], v[152:153]
	v_fma_f64 v[38:39], v[89:90], s[26:27], -v[152:153]
	v_add_f64_e32 v[26:27], v[154:155], v[26:27]
	v_mul_f64_e32 v[154:155], s[16:17], v[48:49]
	s_delay_alu instid0(VALU_DEP_3) | instskip(SKIP_1) | instid1(VALU_DEP_3)
	v_add_f64_e32 v[34:35], v[38:39], v[34:35]
	v_mul_f64_e32 v[48:49], s[8:9], v[48:49]
	v_fma_f64 v[156:157], v[52:53], s[22:23], -v[154:155]
	v_fma_f64 v[38:39], v[52:53], s[22:23], v[154:155]
	s_delay_alu instid0(VALU_DEP_2) | instskip(SKIP_1) | instid1(VALU_DEP_3)
	v_add_f64_e32 v[24:25], v[156:157], v[24:25]
	v_mul_f64_e32 v[156:157], s[16:17], v[50:51]
	v_add_f64_e32 v[32:33], v[38:39], v[32:33]
	v_mul_f64_e32 v[50:51], s[8:9], v[50:51]
	s_delay_alu instid0(VALU_DEP_3) | instskip(SKIP_1) | instid1(VALU_DEP_2)
	v_fma_f64 v[38:39], v[54:55], s[22:23], -v[156:157]
	v_fma_f64 v[158:159], v[54:55], s[22:23], v[156:157]
	v_add_f64_e32 v[38:39], v[38:39], v[34:35]
	v_fma_f64 v[34:35], v[44:45], s[12:13], v[160:161]
	s_delay_alu instid0(VALU_DEP_3) | instskip(SKIP_1) | instid1(VALU_DEP_3)
	v_add_f64_e32 v[158:159], v[158:159], v[26:27]
	v_fma_f64 v[26:27], v[44:45], s[12:13], -v[160:161]
	v_add_f64_e32 v[34:35], v[34:35], v[32:33]
	v_add_f64_e32 v[32:33], v[56:57], v[38:39]
	;; [unrolled: 1-line block ×3, first 2 shown]
	v_fma_f64 v[36:37], v[105:106], s[20:21], v[117:118]
	v_fma_f64 v[38:39], v[107:108], s[20:21], -v[119:120]
	v_add_f64_e32 v[26:27], v[26:27], v[24:25]
	v_fma_f64 v[24:25], v[46:47], s[12:13], v[162:163]
	v_add_f64_e32 v[56:57], v[56:57], v[170:171]
	v_add_f64_e32 v[36:37], v[36:37], v[77:78]
	;; [unrolled: 1-line block ×3, first 2 shown]
	v_mul_f64_e32 v[77:78], s[16:17], v[103:104]
	v_mul_f64_e32 v[71:72], s[18:19], v[95:96]
	v_add_f64_e32 v[24:25], v[24:25], v[158:159]
	v_add_f64_e32 v[36:37], v[62:63], v[36:37]
	v_fma_f64 v[62:63], v[99:100], s[2:3], -v[123:124]
	v_fma_f64 v[91:92], v[107:108], s[22:23], -v[77:78]
	v_fma_f64 v[77:78], v[107:108], s[22:23], v[77:78]
	v_fma_f64 v[75:76], v[99:100], s[24:25], -v[71:72]
	v_fma_f64 v[71:72], v[99:100], s[24:25], v[71:72]
	v_add_f64_e32 v[38:39], v[62:63], v[38:39]
	v_fma_f64 v[62:63], v[87:88], s[12:13], v[125:126]
	v_add_f64_e32 v[69:70], v[77:78], v[81:82]
	v_fma_f64 v[77:78], v[52:53], s[12:13], v[48:49]
	v_fma_f64 v[48:49], v[52:53], s[12:13], -v[48:49]
	s_delay_alu instid0(VALU_DEP_4) | instskip(SKIP_1) | instid1(VALU_DEP_1)
	v_add_f64_e32 v[36:37], v[62:63], v[36:37]
	v_fma_f64 v[62:63], v[89:90], s[12:13], -v[127:128]
	v_add_f64_e32 v[38:39], v[62:63], v[38:39]
	v_fma_f64 v[62:63], v[52:53], s[24:25], v[129:130]
	v_add_f64_e32 v[52:53], v[91:92], v[73:74]
	s_delay_alu instid0(VALU_DEP_2) | instskip(SKIP_1) | instid1(VALU_DEP_3)
	v_add_f64_e32 v[36:37], v[62:63], v[36:37]
	v_fma_f64 v[62:63], v[54:55], s[24:25], -v[131:132]
	v_add_f64_e32 v[52:53], v[75:76], v[52:53]
	s_delay_alu instid0(VALU_DEP_2) | instskip(SKIP_1) | instid1(VALU_DEP_1)
	v_add_f64_e32 v[62:63], v[62:63], v[38:39]
	v_fma_f64 v[38:39], v[44:45], s[26:27], v[133:134]
	v_add_f64_e32 v[38:39], v[38:39], v[36:37]
	s_delay_alu instid0(VALU_DEP_3)
	v_add_f64_e32 v[36:37], v[65:66], v[62:63]
	v_mul_f64_e32 v[62:63], s[18:19], v[93:94]
	v_fma_f64 v[93:94], v[87:88], s[20:21], v[83:84]
	v_fma_f64 v[83:84], v[87:88], s[20:21], -v[83:84]
	v_fma_f64 v[87:88], v[89:90], s[20:21], -v[85:86]
	v_fma_f64 v[85:86], v[89:90], s[20:21], v[85:86]
	v_fma_f64 v[65:66], v[97:98], s[24:25], v[62:63]
	v_fma_f64 v[62:63], v[97:98], s[24:25], -v[62:63]
	s_delay_alu instid0(VALU_DEP_2) | instskip(NEXT) | instid1(VALU_DEP_2)
	v_add_f64_e32 v[60:61], v[65:66], v[60:61]
	v_add_f64_e32 v[62:63], v[62:63], v[67:68]
	;; [unrolled: 1-line block ×3, first 2 shown]
	v_fma_f64 v[67:68], v[54:55], s[12:13], -v[50:51]
	v_fma_f64 v[50:51], v[54:55], s[12:13], v[50:51]
	v_add_f64_e32 v[54:55], v[93:94], v[60:61]
	v_add_f64_e32 v[60:61], v[83:84], v[62:63]
	;; [unrolled: 1-line block ×3, first 2 shown]
	v_fma_f64 v[65:66], v[44:45], s[2:3], v[40:41]
	v_fma_f64 v[40:41], v[44:45], s[2:3], -v[40:41]
	v_add_f64_e32 v[44:45], v[87:88], v[52:53]
	v_add_f64_e32 v[52:53], v[77:78], v[54:55]
	;; [unrolled: 1-line block ×3, first 2 shown]
	v_fma_f64 v[54:55], v[46:47], s[2:3], v[42:43]
	v_fma_f64 v[60:61], v[46:47], s[2:3], -v[42:43]
	v_add_f64_e32 v[50:51], v[50:51], v[62:63]
	v_add_f64_e32 v[44:45], v[67:68], v[44:45]
	v_add_f64_e32 v[46:47], v[65:66], v[52:53]
	scratch_load_b32 v52, off, off offset:808 th:TH_LOAD_LU ; 4-byte Folded Reload
	v_add_f64_e32 v[42:43], v[40:41], v[48:49]
	v_add_f64_e32 v[48:49], v[58:59], v[164:165]
	;; [unrolled: 1-line block ×5, first 2 shown]
	s_wait_loadcnt 0x0
	v_lshlrev_b32_e32 v52, 4, v52
	ds_store_b128 v52, v[20:23] offset:32
	ds_store_b128 v52, v[24:27] offset:48
	;; [unrolled: 1-line block ×11, first 2 shown]
	ds_store_b128 v52, v[48:51]
	ds_store_b128 v52, v[44:47] offset:192
.LBB0_13:
	s_or_b32 exec_lo, exec_lo, s33
	global_wb scope:SCOPE_SE
	s_wait_dscnt 0x0
	s_barrier_signal -1
	s_barrier_wait -1
	global_inv scope:SCOPE_SE
	ds_load_b128 v[0:3], v64 offset:9360
	ds_load_b128 v[4:7], v64 offset:7488
	scratch_load_b128 v[22:25], off, off offset:436 th:TH_LOAD_LU ; 16-byte Folded Reload
	ds_load_b128 v[8:11], v64 offset:18720
	ds_load_b128 v[12:15], v64 offset:20592
	s_clause 0x1
	scratch_load_b128 v[34:37], off, off offset:468 th:TH_LOAD_LU
	scratch_load_b128 v[40:43], off, off offset:484 th:TH_LOAD_LU
	s_mov_b32 s0, 0xe8584caa
	s_mov_b32 s1, 0xbfebb67a
	;; [unrolled: 1-line block ×3, first 2 shown]
	s_wait_alu 0xfffe
	s_mov_b32 s2, s0
	s_mov_b32 s8, 0x134454ff
	;; [unrolled: 1-line block ×4, first 2 shown]
	s_wait_alu 0xfffe
	s_mov_b32 s12, s8
	scratch_load_b128 v[30:33], off, off offset:420 th:TH_LOAD_LU ; 16-byte Folded Reload
	s_wait_loadcnt_dscnt 0x303
	v_mul_f64_e32 v[16:17], v[24:25], v[2:3]
	v_mul_f64_e32 v[18:19], v[24:25], v[0:1]
	scratch_load_b128 v[24:27], off, off offset:404 th:TH_LOAD_LU ; 16-byte Folded Reload
	s_wait_loadcnt_dscnt 0x300
	v_mul_f64_e32 v[28:29], v[36:37], v[14:15]
	v_fma_f64 v[16:17], v[22:23], v[0:1], v[16:17]
	v_fma_f64 v[18:19], v[22:23], v[2:3], -v[18:19]
	ds_load_b128 v[0:3], v64 offset:11232
	v_fma_f64 v[28:29], v[34:35], v[12:13], v[28:29]
	s_wait_loadcnt 0x0
	v_mul_f64_e32 v[20:21], v[26:27], v[10:11]
	v_mul_f64_e32 v[22:23], v[26:27], v[8:9]
	s_delay_alu instid0(VALU_DEP_2) | instskip(NEXT) | instid1(VALU_DEP_2)
	v_fma_f64 v[20:21], v[24:25], v[8:9], v[20:21]
	v_fma_f64 v[22:23], v[24:25], v[10:11], -v[22:23]
	ds_load_b128 v[8:11], v64 offset:13104
	s_wait_dscnt 0x1
	v_mul_f64_e32 v[24:25], v[32:33], v[2:3]
	v_mul_f64_e32 v[26:27], v[32:33], v[0:1]
	s_wait_dscnt 0x0
	v_mul_f64_e32 v[32:33], v[42:43], v[8:9]
	s_delay_alu instid0(VALU_DEP_3) | instskip(SKIP_1) | instid1(VALU_DEP_4)
	v_fma_f64 v[24:25], v[30:31], v[0:1], v[24:25]
	v_mul_f64_e32 v[0:1], v[36:37], v[12:13]
	v_fma_f64 v[26:27], v[30:31], v[2:3], -v[26:27]
	v_mul_f64_e32 v[30:31], v[42:43], v[10:11]
	s_delay_alu instid0(VALU_DEP_4) | instskip(NEXT) | instid1(VALU_DEP_4)
	v_add_f64_e64 v[69:70], v[24:25], -v[28:29]
	v_fma_f64 v[34:35], v[34:35], v[14:15], -v[0:1]
	ds_load_b128 v[0:3], v64 offset:22464
	ds_load_b128 v[12:15], v64 offset:24336
	s_clause 0x2
	scratch_load_b128 v[42:45], off, off offset:500 th:TH_LOAD_LU
	scratch_load_b128 v[65:68], off, off offset:552 th:TH_LOAD_LU
	;; [unrolled: 1-line block ×3, first 2 shown]
	v_fma_f64 v[38:39], v[40:41], v[8:9], v[30:31]
	v_fma_f64 v[40:41], v[40:41], v[10:11], -v[32:33]
	ds_load_b128 v[8:11], v64 offset:14976
	scratch_load_b128 v[54:57], off, off offset:600 th:TH_LOAD_LU ; 16-byte Folded Reload
	v_add_f64_e32 v[58:59], v[26:27], v[34:35]
	s_wait_loadcnt_dscnt 0x302
	v_mul_f64_e32 v[36:37], v[44:45], v[2:3]
	v_mul_f64_e32 v[30:31], v[44:45], v[0:1]
	s_delay_alu instid0(VALU_DEP_2) | instskip(NEXT) | instid1(VALU_DEP_2)
	v_fma_f64 v[36:37], v[42:43], v[0:1], v[36:37]
	v_fma_f64 v[42:43], v[42:43], v[2:3], -v[30:31]
	ds_load_b128 v[0:3], v64 offset:16848
	s_wait_loadcnt_dscnt 0x101
	v_mul_f64_e32 v[30:31], v[50:51], v[10:11]
	v_mul_f64_e32 v[32:33], v[50:51], v[8:9]
	scratch_load_b128 v[50:53], off, off offset:568 th:TH_LOAD_LU ; 16-byte Folded Reload
	v_add_f64_e32 v[71:72], v[38:39], v[36:37]
	v_fma_f64 v[46:47], v[48:49], v[8:9], v[30:31]
	v_fma_f64 v[48:49], v[48:49], v[10:11], -v[32:33]
	ds_load_b128 v[8:11], v64 offset:26208
	s_wait_loadcnt_dscnt 0x101
	v_mul_f64_e32 v[32:33], v[56:57], v[2:3]
	s_wait_loadcnt 0x0
	v_mul_f64_e32 v[44:45], v[52:53], v[14:15]
	v_mul_f64_e32 v[30:31], v[52:53], v[12:13]
	s_delay_alu instid0(VALU_DEP_3) | instskip(SKIP_1) | instid1(VALU_DEP_4)
	v_fma_f64 v[52:53], v[54:55], v[0:1], v[32:33]
	v_add_f64_e32 v[32:33], v[18:19], v[22:23]
	v_fma_f64 v[44:45], v[50:51], v[12:13], v[44:45]
	v_mul_f64_e32 v[12:13], v[56:57], v[0:1]
	v_fma_f64 v[50:51], v[50:51], v[14:15], -v[30:31]
	s_wait_dscnt 0x0
	v_mul_f64_e32 v[14:15], v[67:68], v[10:11]
	v_mul_f64_e32 v[30:31], v[67:68], v[8:9]
	v_add_f64_e32 v[56:57], v[24:25], v[28:29]
	v_add_f64_e64 v[67:68], v[16:17], -v[20:21]
	v_fma_f64 v[54:55], v[54:55], v[2:3], -v[12:13]
	v_add_f64_e32 v[12:13], v[16:17], v[20:21]
	v_fma_f64 v[60:61], v[65:66], v[8:9], v[14:15]
	v_fma_f64 v[62:63], v[65:66], v[10:11], -v[30:31]
	ds_load_b128 v[0:3], v64
	ds_load_b128 v[8:11], v64 offset:1872
	s_wait_dscnt 0x1
	v_add_f64_e32 v[14:15], v[0:1], v[16:17]
	v_fma_f64 v[32:33], v[32:33], -0.5, v[2:3]
	v_add_f64_e32 v[2:3], v[2:3], v[18:19]
	s_wait_dscnt 0x0
	v_fma_f64 v[56:57], v[56:57], -0.5, v[8:9]
	v_fma_f64 v[58:59], v[58:59], -0.5, v[10:11]
	v_add_f64_e32 v[65:66], v[10:11], v[26:27]
	v_add_f64_e64 v[18:19], v[18:19], -v[22:23]
	v_add_f64_e64 v[26:27], v[26:27], -v[34:35]
	v_fma_f64 v[30:31], v[12:13], -0.5, v[0:1]
	v_add_f64_e32 v[12:13], v[8:9], v[24:25]
	ds_load_b128 v[8:11], v64 offset:3744
	v_add_f64_e32 v[0:1], v[14:15], v[20:21]
	v_add_f64_e32 v[2:3], v[2:3], v[22:23]
	v_fma_f64 v[22:23], v[67:68], s[0:1], v[32:33]
	v_add_f64_e32 v[14:15], v[65:66], v[34:35]
	v_fma_f64 v[24:25], v[26:27], s[0:1], v[56:57]
	v_fma_f64 v[16:17], v[18:19], s[0:1], v[30:31]
	v_add_f64_e32 v[12:13], v[12:13], v[28:29]
	v_fma_f64 v[20:21], v[18:19], s[2:3], v[30:31]
	v_fma_f64 v[28:29], v[26:27], s[2:3], v[56:57]
	;; [unrolled: 1-line block ×4, first 2 shown]
	v_add_f64_e32 v[58:59], v[40:41], v[42:43]
	v_fma_f64 v[18:19], v[67:68], s[2:3], v[32:33]
	ds_load_b128 v[32:35], v64 offset:5616
	s_wait_dscnt 0x1
	v_fma_f64 v[56:57], v[71:72], -0.5, v[8:9]
	v_add_f64_e32 v[8:9], v[8:9], v[38:39]
	global_wb scope:SCOPE_SE
	s_wait_dscnt 0x0
	s_barrier_signal -1
	s_barrier_wait -1
	global_inv scope:SCOPE_SE
	v_fma_f64 v[58:59], v[58:59], -0.5, v[10:11]
	v_add_f64_e32 v[10:11], v[10:11], v[40:41]
	v_add_f64_e64 v[40:41], v[40:41], -v[42:43]
	v_add_f64_e32 v[8:9], v[8:9], v[36:37]
	s_delay_alu instid0(VALU_DEP_3) | instskip(SKIP_1) | instid1(VALU_DEP_4)
	v_add_f64_e32 v[10:11], v[10:11], v[42:43]
	v_add_f64_e64 v[42:43], v[38:39], -v[36:37]
	v_fma_f64 v[36:37], v[40:41], s[0:1], v[56:57]
	v_fma_f64 v[40:41], v[40:41], s[2:3], v[56:57]
	v_add_f64_e32 v[56:57], v[46:47], v[44:45]
	s_delay_alu instid0(VALU_DEP_4) | instskip(SKIP_2) | instid1(VALU_DEP_4)
	v_fma_f64 v[38:39], v[42:43], s[2:3], v[58:59]
	v_fma_f64 v[42:43], v[42:43], s[0:1], v[58:59]
	v_add_f64_e32 v[58:59], v[48:49], v[50:51]
	v_fma_f64 v[56:57], v[56:57], -0.5, v[32:33]
	v_add_f64_e32 v[32:33], v[32:33], v[46:47]
	s_delay_alu instid0(VALU_DEP_3) | instskip(SKIP_2) | instid1(VALU_DEP_4)
	v_fma_f64 v[58:59], v[58:59], -0.5, v[34:35]
	v_add_f64_e32 v[34:35], v[34:35], v[48:49]
	v_add_f64_e64 v[48:49], v[48:49], -v[50:51]
	v_add_f64_e32 v[32:33], v[32:33], v[44:45]
	s_delay_alu instid0(VALU_DEP_3) | instskip(SKIP_1) | instid1(VALU_DEP_4)
	v_add_f64_e32 v[34:35], v[34:35], v[50:51]
	v_add_f64_e64 v[50:51], v[46:47], -v[44:45]
	v_fma_f64 v[44:45], v[48:49], s[0:1], v[56:57]
	v_fma_f64 v[48:49], v[48:49], s[2:3], v[56:57]
	v_add_f64_e32 v[56:57], v[52:53], v[60:61]
	s_delay_alu instid0(VALU_DEP_4) | instskip(SKIP_2) | instid1(VALU_DEP_4)
	v_fma_f64 v[46:47], v[50:51], s[2:3], v[58:59]
	v_fma_f64 v[50:51], v[50:51], s[0:1], v[58:59]
	v_add_f64_e32 v[58:59], v[54:55], v[62:63]
	v_fma_f64 v[56:57], v[56:57], -0.5, v[4:5]
	v_add_f64_e32 v[4:5], v[4:5], v[52:53]
	s_delay_alu instid0(VALU_DEP_3) | instskip(SKIP_2) | instid1(VALU_DEP_4)
	v_fma_f64 v[58:59], v[58:59], -0.5, v[6:7]
	v_add_f64_e32 v[6:7], v[6:7], v[54:55]
	v_add_f64_e64 v[54:55], v[54:55], -v[62:63]
	v_add_f64_e32 v[4:5], v[4:5], v[60:61]
	v_add_f64_e64 v[60:61], v[52:53], -v[60:61]
	s_delay_alu instid0(VALU_DEP_4) | instskip(NEXT) | instid1(VALU_DEP_4)
	v_add_f64_e32 v[6:7], v[6:7], v[62:63]
	v_fma_f64 v[52:53], v[54:55], s[0:1], v[56:57]
	v_fma_f64 v[56:57], v[54:55], s[2:3], v[56:57]
	s_delay_alu instid0(VALU_DEP_4)
	v_fma_f64 v[54:55], v[60:61], s[2:3], v[58:59]
	v_fma_f64 v[58:59], v[60:61], s[0:1], v[58:59]
	scratch_load_b32 v60, off, off offset:548 th:TH_LOAD_LU ; 4-byte Folded Reload
	s_wait_loadcnt 0x0
	ds_store_b128 v60, v[0:3]
	ds_store_b128 v60, v[16:19] offset:208
	ds_store_b128 v60, v[20:23] offset:416
	scratch_load_b32 v0, off, off offset:544 th:TH_LOAD_LU ; 4-byte Folded Reload
	s_wait_loadcnt 0x0
	ds_store_b128 v0, v[12:15]
	ds_store_b128 v0, v[24:27] offset:208
	ds_store_b128 v0, v[28:31] offset:416
	;; [unrolled: 5-line block ×5, first 2 shown]
	global_wb scope:SCOPE_SE
	s_wait_dscnt 0x0
	s_barrier_signal -1
	s_barrier_wait -1
	global_inv scope:SCOPE_SE
	ds_load_b128 v[0:3], v64 offset:9360
	ds_load_b128 v[4:7], v64 offset:18720
	;; [unrolled: 1-line block ×3, first 2 shown]
	s_clause 0x1
	scratch_load_b128 v[69:72], off, off offset:452 th:TH_LOAD_LU
	scratch_load_b128 v[73:76], off, off offset:516 th:TH_LOAD_LU
	ds_load_b128 v[12:15], v64 offset:20592
	ds_load_b128 v[16:19], v64 offset:11232
	;; [unrolled: 1-line block ×8, first 2 shown]
	s_clause 0x4
	scratch_load_b128 v[81:84], off, off offset:652 th:TH_LOAD_LU
	scratch_load_b128 v[77:80], off, off offset:636 th:TH_LOAD_LU
	;; [unrolled: 1-line block ×5, first 2 shown]
	s_wait_loadcnt_dscnt 0x60a
	v_mul_f64_e32 v[44:45], v[71:72], v[2:3]
	v_mul_f64_e32 v[46:47], v[71:72], v[0:1]
	s_wait_loadcnt_dscnt 0x509
	v_mul_f64_e32 v[48:49], v[75:76], v[6:7]
	v_mul_f64_e32 v[50:51], v[75:76], v[4:5]
	;; [unrolled: 3-line block ×3, first 2 shown]
	scratch_load_b128 v[83:86], off, off offset:668 th:TH_LOAD_LU ; 16-byte Folded Reload
	s_wait_loadcnt_dscnt 0x305
	v_mul_f64_e32 v[60:61], v[89:90], v[22:23]
	v_mul_f64_e32 v[62:63], v[89:90], v[20:21]
	scratch_load_b128 v[89:92], off, off offset:700 th:TH_LOAD_LU ; 16-byte Folded Reload
	v_mul_f64_e32 v[56:57], v[79:80], v[14:15]
	v_mul_f64_e32 v[58:59], v[79:80], v[12:13]
	v_fma_f64 v[44:45], v[69:70], v[0:1], v[44:45]
	v_fma_f64 v[46:47], v[69:70], v[2:3], -v[46:47]
	s_wait_loadcnt_dscnt 0x303
	v_mul_f64_e32 v[0:1], v[95:96], v[30:31]
	v_mul_f64_e32 v[2:3], v[95:96], v[28:29]
	scratch_load_b128 v[95:98], off, off offset:732 th:TH_LOAD_LU ; 16-byte Folded Reload
	v_fma_f64 v[48:49], v[73:74], v[4:5], v[48:49]
	v_fma_f64 v[50:51], v[73:74], v[6:7], -v[50:51]
	s_wait_loadcnt_dscnt 0x301
	v_mul_f64_e32 v[4:5], v[101:102], v[38:39]
	v_mul_f64_e32 v[73:74], v[101:102], v[36:37]
	v_fma_f64 v[20:21], v[87:88], v[20:21], v[60:61]
	v_fma_f64 v[52:53], v[81:82], v[16:17], v[52:53]
	v_fma_f64 v[54:55], v[81:82], v[18:19], -v[54:55]
	v_fma_f64 v[56:57], v[77:78], v[12:13], v[56:57]
	v_fma_f64 v[58:59], v[77:78], v[14:15], -v[58:59]
	v_fma_f64 v[22:23], v[87:88], v[22:23], -v[62:63]
	v_fma_f64 v[28:29], v[93:94], v[28:29], v[0:1]
	v_fma_f64 v[30:31], v[93:94], v[30:31], -v[2:3]
	ds_load_b128 v[0:3], v64
	v_add_f64_e32 v[60:61], v[44:45], v[48:49]
	v_add_f64_e32 v[62:63], v[46:47], v[50:51]
	v_fma_f64 v[36:37], v[99:100], v[36:37], v[4:5]
	v_fma_f64 v[38:39], v[99:100], v[38:39], -v[73:74]
	s_delay_alu instid0(VALU_DEP_1)
	v_add_f64_e32 v[99:100], v[10:11], v[38:39]
	s_wait_loadcnt 0x2
	v_mul_f64_e32 v[65:66], v[85:86], v[26:27]
	v_mul_f64_e32 v[67:68], v[85:86], v[24:25]
	s_wait_loadcnt 0x1
	v_mul_f64_e32 v[69:70], v[91:92], v[34:35]
	v_mul_f64_e32 v[71:72], v[91:92], v[32:33]
	s_wait_loadcnt_dscnt 0x1
	v_mul_f64_e32 v[6:7], v[97:98], v[42:43]
	v_mul_f64_e32 v[75:76], v[97:98], v[40:41]
	v_fma_f64 v[24:25], v[83:84], v[24:25], v[65:66]
	v_fma_f64 v[26:27], v[83:84], v[26:27], -v[67:68]
	v_add_f64_e64 v[83:84], v[46:47], -v[50:51]
	v_fma_f64 v[32:33], v[89:90], v[32:33], v[69:70]
	v_fma_f64 v[34:35], v[89:90], v[34:35], -v[71:72]
	v_add_f64_e32 v[97:98], v[8:9], v[36:37]
	v_add_f64_e32 v[65:66], v[52:53], v[56:57]
	;; [unrolled: 1-line block ×3, first 2 shown]
	v_fma_f64 v[40:41], v[95:96], v[40:41], v[6:7]
	ds_load_b128 v[4:7], v64 offset:1872
	ds_load_b128 v[12:15], v64 offset:3744
	;; [unrolled: 1-line block ×3, first 2 shown]
	s_wait_dscnt 0x3
	v_fma_f64 v[60:61], v[60:61], -0.5, v[0:1]
	v_add_f64_e32 v[69:70], v[20:21], v[24:25]
	v_add_f64_e64 v[103:104], v[20:21], -v[24:25]
	global_wb scope:SCOPE_SE
	s_wait_dscnt 0x0
	s_barrier_signal -1
	s_barrier_wait -1
	global_inv scope:SCOPE_SE
	v_fma_f64 v[42:43], v[95:96], v[42:43], -v[75:76]
	v_add_f64_e32 v[81:82], v[0:1], v[44:45]
	v_add_f64_e32 v[46:47], v[2:3], v[46:47]
	v_add_f64_e64 v[44:45], v[44:45], -v[48:49]
	v_fma_f64 v[62:63], v[62:63], -0.5, v[2:3]
	v_add_f64_e32 v[71:72], v[22:23], v[26:27]
	v_add_f64_e64 v[101:102], v[22:23], -v[26:27]
	v_add_f64_e32 v[73:74], v[28:29], v[32:33]
	v_add_f64_e32 v[75:76], v[30:31], v[34:35]
	v_add_f64_e64 v[105:106], v[30:31], -v[34:35]
	v_add_f64_e64 v[107:108], v[28:29], -v[32:33]
	v_add_f64_e32 v[89:90], v[12:13], v[20:21]
	v_add_f64_e32 v[91:92], v[14:15], v[22:23]
	;; [unrolled: 1-line block ×4, first 2 shown]
	v_add_f64_e64 v[54:55], v[54:55], -v[58:59]
	v_fma_f64 v[65:66], v[65:66], -0.5, v[4:5]
	v_add_f64_e64 v[52:53], v[52:53], -v[56:57]
	v_fma_f64 v[67:68], v[67:68], -0.5, v[6:7]
	v_add_f64_e32 v[93:94], v[16:17], v[28:29]
	v_add_f64_e32 v[95:96], v[18:19], v[30:31]
	;; [unrolled: 1-line block ×3, first 2 shown]
	v_add_f64_e64 v[111:112], v[36:37], -v[40:41]
	v_fma_f64 v[20:21], v[83:84], s[0:1], v[60:61]
	v_fma_f64 v[69:70], v[69:70], -0.5, v[12:13]
	v_add_f64_e32 v[79:80], v[38:39], v[42:43]
	v_add_f64_e32 v[0:1], v[81:82], v[48:49]
	v_add_f64_e32 v[2:3], v[46:47], v[50:51]
	v_add_f64_e64 v[109:110], v[38:39], -v[42:43]
	v_fma_f64 v[22:23], v[44:45], s[2:3], v[62:63]
	v_fma_f64 v[71:72], v[71:72], -0.5, v[14:15]
	v_fma_f64 v[73:74], v[73:74], -0.5, v[16:17]
	;; [unrolled: 1-line block ×3, first 2 shown]
	v_add_f64_e32 v[16:17], v[97:98], v[40:41]
	v_add_f64_e32 v[18:19], v[99:100], v[42:43]
	;; [unrolled: 1-line block ×4, first 2 shown]
	v_fma_f64 v[28:29], v[54:55], s[0:1], v[65:66]
	v_fma_f64 v[30:31], v[52:53], s[2:3], v[67:68]
	v_add_f64_e32 v[12:13], v[93:94], v[32:33]
	v_add_f64_e32 v[14:15], v[95:96], v[34:35]
	v_fma_f64 v[32:33], v[54:55], s[2:3], v[65:66]
	v_fma_f64 v[34:35], v[52:53], s[0:1], v[67:68]
	v_fma_f64 v[77:78], v[77:78], -0.5, v[8:9]
	v_add_f64_e32 v[8:9], v[89:90], v[24:25]
	v_fma_f64 v[24:25], v[83:84], s[2:3], v[60:61]
	scratch_load_b32 v60, off, off offset:632 th:TH_LOAD_LU ; 4-byte Folded Reload
	v_fma_f64 v[36:37], v[101:102], s[0:1], v[69:70]
	v_fma_f64 v[40:41], v[101:102], s[2:3], v[69:70]
	v_fma_f64 v[79:80], v[79:80], -0.5, v[10:11]
	v_add_f64_e32 v[10:11], v[91:92], v[26:27]
	v_fma_f64 v[26:27], v[44:45], s[0:1], v[62:63]
	s_wait_loadcnt 0x0
	ds_store_b128 v60, v[0:3]
	ds_store_b128 v60, v[20:23] offset:624
	ds_store_b128 v60, v[24:27] offset:1248
	scratch_load_b32 v0, off, off offset:628 th:TH_LOAD_LU ; 4-byte Folded Reload
	v_fma_f64 v[38:39], v[103:104], s[2:3], v[71:72]
	v_fma_f64 v[42:43], v[103:104], s[0:1], v[71:72]
	;; [unrolled: 1-line block ×10, first 2 shown]
	s_wait_loadcnt 0x0
	ds_store_b128 v0, v[4:7]
	ds_store_b128 v0, v[28:31] offset:624
	ds_store_b128 v0, v[32:35] offset:1248
	scratch_load_b32 v0, off, off offset:624 th:TH_LOAD_LU ; 4-byte Folded Reload
	s_wait_loadcnt 0x0
	ds_store_b128 v0, v[8:11]
	ds_store_b128 v0, v[36:39] offset:624
	ds_store_b128 v0, v[40:43] offset:1248
	scratch_load_b32 v0, off, off offset:620 th:TH_LOAD_LU ; 4-byte Folded Reload
	;; [unrolled: 5-line block ×3, first 2 shown]
	s_wait_loadcnt 0x0
	ds_store_b128 v0, v[16:19]
	ds_store_b128 v0, v[52:55] offset:624
	ds_store_b128 v0, v[56:59] offset:1248
	global_wb scope:SCOPE_SE
	s_wait_dscnt 0x0
	s_barrier_signal -1
	s_barrier_wait -1
	global_inv scope:SCOPE_SE
	ds_load_b128 v[0:3], v64 offset:9360
	ds_load_b128 v[4:7], v64 offset:18720
	;; [unrolled: 1-line block ×11, first 2 shown]
	scratch_load_b128 v[85:88], off, off offset:780 th:TH_LOAD_LU ; 16-byte Folded Reload
	s_wait_dscnt 0xa
	v_mul_f64_e32 v[44:45], v[146:147], v[2:3]
	v_mul_f64_e32 v[46:47], v[146:147], v[0:1]
	s_wait_dscnt 0x9
	v_mul_f64_e32 v[48:49], v[150:151], v[6:7]
	v_mul_f64_e32 v[50:51], v[150:151], v[4:5]
	;; [unrolled: 3-line block ×5, first 2 shown]
	s_wait_dscnt 0x4
	v_mul_f64_e32 v[69:70], v[202:203], v[26:27]
	s_wait_dscnt 0x3
	v_mul_f64_e32 v[71:72], v[198:199], v[30:31]
	v_mul_f64_e32 v[73:74], v[202:203], v[24:25]
	;; [unrolled: 1-line block ×3, first 2 shown]
	s_wait_dscnt 0x2
	v_mul_f64_e32 v[81:82], v[210:211], v[32:33]
	s_wait_dscnt 0x1
	v_mul_f64_e32 v[83:84], v[206:207], v[36:37]
	v_mul_f64_e32 v[77:78], v[210:211], v[34:35]
	;; [unrolled: 1-line block ×3, first 2 shown]
	v_fma_f64 v[44:45], v[144:145], v[0:1], v[44:45]
	v_fma_f64 v[46:47], v[144:145], v[2:3], -v[46:47]
	v_fma_f64 v[48:49], v[148:149], v[4:5], v[48:49]
	v_fma_f64 v[50:51], v[148:149], v[6:7], -v[50:51]
	v_fma_f64 v[52:53], v[144:145], v[8:9], v[52:53]
	v_fma_f64 v[54:55], v[144:145], v[10:11], -v[54:55]
	v_fma_f64 v[56:57], v[148:149], v[12:13], v[56:57]
	v_fma_f64 v[58:59], v[148:149], v[14:15], -v[58:59]
	v_fma_f64 v[16:17], v[192:193], v[16:17], v[60:61]
	v_fma_f64 v[18:19], v[192:193], v[18:19], -v[62:63]
	v_fma_f64 v[24:25], v[200:201], v[24:25], v[69:70]
	v_fma_f64 v[28:29], v[196:197], v[28:29], v[71:72]
	v_fma_f64 v[26:27], v[200:201], v[26:27], -v[73:74]
	v_fma_f64 v[30:31], v[196:197], v[30:31], -v[75:76]
	ds_load_b128 v[0:3], v64
	ds_load_b128 v[4:7], v64 offset:1872
	ds_load_b128 v[8:11], v64 offset:3744
	;; [unrolled: 1-line block ×3, first 2 shown]
	v_fma_f64 v[34:35], v[208:209], v[34:35], -v[81:82]
	v_fma_f64 v[38:39], v[204:205], v[38:39], -v[83:84]
	v_fma_f64 v[32:33], v[208:209], v[32:33], v[77:78]
	v_fma_f64 v[36:37], v[204:205], v[36:37], v[79:80]
	global_wb scope:SCOPE_SE
	s_wait_loadcnt_dscnt 0x0
	s_barrier_signal -1
	s_barrier_wait -1
	global_inv scope:SCOPE_SE
	v_add_f64_e32 v[81:82], v[0:1], v[44:45]
	v_add_f64_e32 v[60:61], v[44:45], v[48:49]
	;; [unrolled: 1-line block ×3, first 2 shown]
	v_add_f64_e64 v[83:84], v[46:47], -v[50:51]
	v_add_f64_e32 v[46:47], v[2:3], v[46:47]
	v_add_f64_e64 v[44:45], v[44:45], -v[48:49]
	v_add_f64_e32 v[89:90], v[8:9], v[16:17]
	v_add_f64_e32 v[91:92], v[10:11], v[18:19]
	;; [unrolled: 1-line block ×6, first 2 shown]
	v_add_f64_e64 v[105:106], v[26:27], -v[30:31]
	v_add_f64_e64 v[107:108], v[24:25], -v[28:29]
	v_add_f64_e32 v[99:100], v[42:43], v[34:35]
	v_add_f64_e32 v[79:80], v[34:35], v[38:39]
	;; [unrolled: 1-line block ×4, first 2 shown]
	v_add_f64_e64 v[109:110], v[34:35], -v[38:39]
	v_add_f64_e64 v[111:112], v[32:33], -v[36:37]
	v_fma_f64 v[60:61], v[60:61], -0.5, v[0:1]
	v_fma_f64 v[62:63], v[62:63], -0.5, v[2:3]
	v_add_f64_e32 v[0:1], v[81:82], v[48:49]
	v_add_f64_e32 v[2:3], v[46:47], v[50:51]
	v_fma_f64 v[73:74], v[73:74], -0.5, v[12:13]
	v_add_f64_e32 v[12:13], v[93:94], v[28:29]
	v_fma_f64 v[75:76], v[75:76], -0.5, v[14:15]
	;; [unrolled: 2-line block ×3, first 2 shown]
	v_fma_f64 v[77:78], v[77:78], -0.5, v[40:41]
	v_fma_f64 v[24:25], v[83:84], s[2:3], v[60:61]
	v_fma_f64 v[26:27], v[44:45], s[0:1], v[62:63]
	;; [unrolled: 1-line block ×5, first 2 shown]
	v_mul_f64_e32 v[65:66], v[87:88], v[22:23]
	v_mul_f64_e32 v[67:68], v[87:88], v[20:21]
	v_add_f64_e32 v[87:88], v[6:7], v[54:55]
	s_delay_alu instid0(VALU_DEP_3) | instskip(NEXT) | instid1(VALU_DEP_3)
	v_fma_f64 v[20:21], v[85:86], v[20:21], v[65:66]
	v_fma_f64 v[22:23], v[85:86], v[22:23], -v[67:68]
	v_add_f64_e32 v[65:66], v[52:53], v[56:57]
	v_add_f64_e32 v[67:68], v[54:55], v[58:59]
	v_add_f64_e32 v[85:86], v[4:5], v[52:53]
	v_add_f64_e64 v[54:55], v[54:55], -v[58:59]
	v_add_f64_e64 v[52:53], v[52:53], -v[56:57]
	v_add_f64_e32 v[69:70], v[16:17], v[20:21]
	v_add_f64_e32 v[71:72], v[18:19], v[22:23]
	v_fma_f64 v[65:66], v[65:66], -0.5, v[4:5]
	v_fma_f64 v[67:68], v[67:68], -0.5, v[6:7]
	v_add_f64_e64 v[101:102], v[18:19], -v[22:23]
	v_add_f64_e64 v[103:104], v[16:17], -v[20:21]
	v_add_f64_e32 v[4:5], v[85:86], v[56:57]
	v_add_f64_e32 v[6:7], v[87:88], v[58:59]
	;; [unrolled: 1-line block ×4, first 2 shown]
	v_fma_f64 v[56:57], v[109:110], s[2:3], v[77:78]
	v_fma_f64 v[58:59], v[111:112], s[0:1], v[79:80]
	v_fma_f64 v[69:70], v[69:70], -0.5, v[8:9]
	v_fma_f64 v[71:72], v[71:72], -0.5, v[10:11]
	v_add_f64_e32 v[8:9], v[89:90], v[20:21]
	v_add_f64_e32 v[10:11], v[91:92], v[22:23]
	v_fma_f64 v[20:21], v[83:84], s[0:1], v[60:61]
	v_fma_f64 v[22:23], v[44:45], s[2:3], v[62:63]
	;; [unrolled: 1-line block ×6, first 2 shown]
	ds_store_b128 v64, v[0:3]
	ds_store_b128 v64, v[20:23] offset:1872
	ds_store_b128 v64, v[24:27] offset:3744
	;; [unrolled: 1-line block ×5, first 2 shown]
	scratch_load_b32 v0, off, off offset:804 th:TH_LOAD_LU ; 4-byte Folded Reload
	v_fma_f64 v[36:37], v[101:102], s[0:1], v[69:70]
	v_fma_f64 v[38:39], v[103:104], s[2:3], v[71:72]
	;; [unrolled: 1-line block ×7, first 2 shown]
	s_mov_b32 s0, 0x4755a5e
	s_mov_b32 s1, 0xbfe2cf23
	;; [unrolled: 1-line block ×3, first 2 shown]
	s_wait_alu 0xfffe
	s_mov_b32 s2, s0
	s_wait_loadcnt 0x0
	ds_store_b128 v0, v[8:11] offset:11232
	ds_store_b128 v0, v[36:39] offset:13104
	;; [unrolled: 1-line block ×3, first 2 shown]
	scratch_load_b32 v0, off, off offset:800 th:TH_LOAD_LU ; 4-byte Folded Reload
	s_wait_loadcnt 0x0
	ds_store_b128 v0, v[12:15] offset:16848
	ds_store_b128 v0, v[44:47] offset:18720
	;; [unrolled: 1-line block ×3, first 2 shown]
	scratch_load_b32 v0, off, off offset:796 th:TH_LOAD_LU ; 4-byte Folded Reload
	s_wait_loadcnt 0x0
	ds_store_b128 v0, v[16:19] offset:22464
	ds_store_b128 v0, v[52:55] offset:24336
	;; [unrolled: 1-line block ×3, first 2 shown]
	global_wb scope:SCOPE_SE
	s_wait_dscnt 0x0
	s_barrier_signal -1
	s_barrier_wait -1
	global_inv scope:SCOPE_SE
	ds_load_b128 v[0:3], v64 offset:5616
	ds_load_b128 v[4:7], v64 offset:11232
	;; [unrolled: 1-line block ×13, first 2 shown]
	scratch_load_b128 v[101:104], off, off offset:764 th:TH_LOAD_LU ; 16-byte Folded Reload
	s_wait_dscnt 0xb
	v_mul_f64_e32 v[56:57], v[214:215], v[6:7]
	s_wait_dscnt 0xa
	v_mul_f64_e32 v[60:61], v[222:223], v[10:11]
	;; [unrolled: 2-line block ×3, first 2 shown]
	v_mul_f64_e32 v[58:59], v[214:215], v[4:5]
	v_mul_f64_e32 v[62:63], v[222:223], v[8:9]
	s_wait_dscnt 0x8
	v_mul_f64_e32 v[71:72], v[230:231], v[16:17]
	s_wait_dscnt 0x5
	v_mul_f64_e32 v[83:84], v[234:235], v[28:29]
	v_mul_f64_e32 v[67:68], v[218:219], v[12:13]
	;; [unrolled: 1-line block ×5, first 2 shown]
	s_wait_dscnt 0x3
	v_mul_f64_e32 v[85:86], v[246:247], v[38:39]
	v_mul_f64_e32 v[73:74], v[226:227], v[22:23]
	;; [unrolled: 1-line block ×5, first 2 shown]
	s_wait_dscnt 0x2
	v_mul_f64_e32 v[89:90], v[242:243], v[42:43]
	s_wait_dscnt 0x1
	v_mul_f64_e32 v[93:94], v[254:255], v[46:47]
	;; [unrolled: 2-line block ×3, first 2 shown]
	v_mul_f64_e32 v[91:92], v[242:243], v[40:41]
	v_mul_f64_e32 v[95:96], v[254:255], v[44:45]
	;; [unrolled: 1-line block ×3, first 2 shown]
	v_fma_f64 v[56:57], v[212:213], v[4:5], v[56:57]
	v_fma_f64 v[8:9], v[220:221], v[8:9], v[60:61]
	;; [unrolled: 1-line block ×3, first 2 shown]
	v_fma_f64 v[58:59], v[212:213], v[6:7], -v[58:59]
	v_fma_f64 v[10:11], v[220:221], v[10:11], -v[62:63]
	;; [unrolled: 1-line block ×5, first 2 shown]
	v_fma_f64 v[16:17], v[228:229], v[16:17], v[69:70]
	v_fma_f64 v[22:23], v[224:225], v[22:23], -v[75:76]
	v_fma_f64 v[26:27], v[236:237], v[26:27], -v[79:80]
	v_fma_f64 v[36:37], v[244:245], v[36:37], v[85:86]
	v_fma_f64 v[20:21], v[224:225], v[20:21], v[73:74]
	;; [unrolled: 1-line block ×4, first 2 shown]
	v_fma_f64 v[38:39], v[244:245], v[38:39], -v[87:88]
	v_fma_f64 v[40:41], v[240:241], v[40:41], v[89:90]
	v_fma_f64 v[44:45], v[252:253], v[44:45], v[93:94]
	;; [unrolled: 1-line block ×3, first 2 shown]
	v_fma_f64 v[42:43], v[240:241], v[42:43], -v[91:92]
	v_fma_f64 v[46:47], v[252:253], v[46:47], -v[95:96]
	;; [unrolled: 1-line block ×3, first 2 shown]
	ds_load_b128 v[4:7], v64 offset:1872
	v_add_f64_e32 v[60:61], v[56:57], v[8:9]
	v_add_f64_e64 v[79:80], v[12:13], -v[8:9]
	v_add_f64_e64 v[89:90], v[8:9], -v[12:13]
	v_add_f64_e32 v[69:70], v[58:59], v[10:11]
	v_add_f64_e64 v[71:72], v[58:59], -v[10:11]
	v_add_f64_e32 v[85:86], v[18:19], v[30:31]
	v_add_f64_e64 v[111:112], v[18:19], -v[30:31]
	v_add_f64_e64 v[105:106], v[14:15], -v[10:11]
	;; [unrolled: 1-line block ×3, first 2 shown]
	v_add_f64_e32 v[87:88], v[22:23], v[26:27]
	v_add_f64_e32 v[127:128], v[32:33], v[36:37]
	v_add_f64_e64 v[113:114], v[22:23], -v[26:27]
	v_add_f64_e64 v[125:126], v[20:21], -v[24:25]
	v_add_f64_e32 v[77:78], v[20:21], v[24:25]
	v_add_f64_e64 v[115:116], v[16:17], -v[20:21]
	v_add_f64_e64 v[119:120], v[20:21], -v[16:17]
	v_add_f64_e32 v[93:94], v[40:41], v[44:45]
	v_add_f64_e32 v[97:98], v[36:37], v[48:49]
	v_add_f64_e64 v[135:136], v[36:37], -v[48:49]
	v_add_f64_e64 v[137:138], v[40:41], -v[44:45]
	v_add_f64_e32 v[81:82], v[16:17], v[28:29]
	v_add_f64_e32 v[95:96], v[42:43], v[46:47]
	;; [unrolled: 1-line block ×4, first 2 shown]
	v_add_f64_e64 v[107:108], v[10:11], -v[14:15]
	v_add_f64_e64 v[133:134], v[38:39], -v[50:51]
	;; [unrolled: 1-line block ×8, first 2 shown]
	s_wait_dscnt 0x0
	v_add_f64_e32 v[109:110], v[4:5], v[16:17]
	v_add_f64_e32 v[123:124], v[6:7], v[18:19]
	v_add_f64_e64 v[18:19], v[22:23], -v[18:19]
	v_add_f64_e64 v[16:17], v[16:17], -v[28:29]
	v_fma_f64 v[85:86], v[85:86], -0.5, v[6:7]
	v_fma_f64 v[6:7], v[87:88], -0.5, v[6:7]
	v_add_f64_e64 v[87:88], v[36:37], -v[40:41]
	v_add_f64_e64 v[36:37], v[40:41], -v[36:37]
	v_add_f64_e32 v[40:41], v[127:128], v[40:41]
	v_fma_f64 v[77:78], v[77:78], -0.5, v[4:5]
	v_fma_f64 v[93:94], v[93:94], -0.5, v[32:33]
	;; [unrolled: 1-line block ×3, first 2 shown]
	v_add_f64_e64 v[97:98], v[48:49], -v[44:45]
	v_fma_f64 v[4:5], v[81:82], -0.5, v[4:5]
	v_fma_f64 v[95:96], v[95:96], -0.5, v[34:35]
	;; [unrolled: 1-line block ×3, first 2 shown]
	v_add_f64_e64 v[99:100], v[44:45], -v[48:49]
	v_add_f64_e64 v[81:82], v[42:43], -v[46:47]
	v_add_f64_e32 v[42:43], v[129:130], v[42:43]
	v_add_f64_e32 v[115:116], v[115:116], v[117:118]
	;; [unrolled: 1-line block ×6, first 2 shown]
	v_fma_f64 v[109:110], v[125:126], s[8:9], v[85:86]
	v_fma_f64 v[85:86], v[125:126], s[12:13], v[85:86]
	;; [unrolled: 1-line block ×6, first 2 shown]
	v_add_f64_e32 v[87:88], v[87:88], v[97:98]
	v_fma_f64 v[129:130], v[135:136], s[12:13], v[95:96]
	v_fma_f64 v[147:148], v[137:138], s[8:9], v[34:35]
	;; [unrolled: 1-line block ×6, first 2 shown]
	v_add_f64_e32 v[97:98], v[36:37], v[99:100]
	v_add_f64_e32 v[99:100], v[139:140], v[141:142]
	s_delay_alu instid0(VALU_DEP_3) | instskip(SKIP_3) | instid1(VALU_DEP_2)
	v_fma_f64 v[95:96], v[137:138], s[0:1], v[95:96]
	s_wait_loadcnt 0x0
	v_mul_f64_e32 v[52:53], v[103:104], v[2:3]
	v_mul_f64_e32 v[54:55], v[103:104], v[0:1]
	v_fma_f64 v[52:53], v[101:102], v[0:1], v[52:53]
	s_delay_alu instid0(VALU_DEP_2)
	v_fma_f64 v[54:55], v[101:102], v[2:3], -v[54:55]
	ds_load_b128 v[0:3], v64
	v_add_f64_e64 v[101:102], v[56:57], -v[8:9]
	s_wait_dscnt 0x0
	v_fma_f64 v[60:61], v[60:61], -0.5, v[0:1]
	v_fma_f64 v[69:70], v[69:70], -0.5, v[2:3]
	v_add_f64_e32 v[65:66], v[52:53], v[12:13]
	v_add_f64_e32 v[62:63], v[0:1], v[52:53]
	;; [unrolled: 1-line block ×3, first 2 shown]
	v_add_f64_e64 v[75:76], v[52:53], -v[56:57]
	v_add_f64_e64 v[83:84], v[56:57], -v[52:53]
	v_add_f64_e32 v[91:92], v[2:3], v[54:55]
	v_add_f64_e64 v[52:53], v[52:53], -v[12:13]
	v_add_f64_e64 v[67:68], v[54:55], -v[14:15]
	;; [unrolled: 1-line block ×4, first 2 shown]
	v_fma_f64 v[0:1], v[65:66], -0.5, v[0:1]
	v_add_f64_e32 v[56:57], v[62:63], v[56:57]
	v_fma_f64 v[2:3], v[73:74], -0.5, v[2:3]
	v_add_f64_e64 v[73:74], v[26:27], -v[30:31]
	v_add_f64_e32 v[62:63], v[75:76], v[79:80]
	v_add_f64_e32 v[75:76], v[83:84], v[89:90]
	;; [unrolled: 1-line block ×3, first 2 shown]
	v_fma_f64 v[91:92], v[52:53], s[12:13], v[69:70]
	v_fma_f64 v[69:70], v[52:53], s[8:9], v[69:70]
	v_add_f64_e32 v[79:80], v[103:104], v[105:106]
	v_add_f64_e32 v[54:55], v[54:55], v[107:108]
	v_fma_f64 v[83:84], v[67:68], s[8:9], v[60:61]
	v_fma_f64 v[60:61], v[67:68], s[12:13], v[60:61]
	;; [unrolled: 1-line block ×3, first 2 shown]
	v_add_f64_e64 v[65:66], v[30:31], -v[26:27]
	v_fma_f64 v[105:106], v[111:112], s[8:9], v[77:78]
	v_fma_f64 v[77:78], v[111:112], s[12:13], v[77:78]
	v_fma_f64 v[4:5], v[113:114], s[8:9], v[4:5]
	v_fma_f64 v[89:90], v[71:72], s[12:13], v[0:1]
	v_fma_f64 v[0:1], v[71:72], s[8:9], v[0:1]
	v_fma_f64 v[103:104], v[101:102], s[8:9], v[2:3]
	v_add_f64_e32 v[73:74], v[18:19], v[73:74]
	v_add_f64_e32 v[18:19], v[20:21], v[24:25]
	;; [unrolled: 1-line block ×4, first 2 shown]
	v_fma_f64 v[2:3], v[101:102], s[12:13], v[2:3]
	v_fma_f64 v[44:45], v[101:102], s[0:1], v[69:70]
	s_wait_alu 0xfffe
	v_fma_f64 v[69:70], v[16:17], s[2:3], v[109:110]
	scratch_load_b32 v110, off, off offset:352 th:TH_LOAD_LU ; 4-byte Folded Reload
	v_add_f64_e32 v[8:9], v[56:57], v[8:9]
	v_add_f64_e32 v[10:11], v[58:59], v[10:11]
	;; [unrolled: 1-line block ×3, first 2 shown]
	v_fma_f64 v[36:37], v[71:72], s[2:3], v[60:61]
	v_fma_f64 v[60:61], v[111:112], s[0:1], v[107:108]
	v_add_f64_e32 v[65:66], v[131:132], v[65:66]
	v_fma_f64 v[58:59], v[113:114], s[2:3], v[77:78]
	v_fma_f64 v[77:78], v[125:126], s[0:1], v[6:7]
	;; [unrolled: 1-line block ×14, first 2 shown]
	scratch_load_b64 v[0:1], off, off offset:344 th:TH_LOAD_LU ; 8-byte Folded Reload
	v_fma_f64 v[46:47], v[52:53], s[2:3], v[103:104]
	v_fma_f64 v[89:90], v[137:138], s[2:3], v[129:130]
	;; [unrolled: 1-line block ×5, first 2 shown]
	s_mov_b32 s0, 0x372fe950
	s_mov_b32 s1, 0x3fd3c6ef
	v_add_f64_e32 v[4:5], v[18:19], v[28:29]
	v_add_f64_e32 v[6:7], v[20:21], v[30:31]
	;; [unrolled: 1-line block ×3, first 2 shown]
	s_wait_alu 0xfffe
	v_fma_f64 v[18:19], v[79:80], s[0:1], v[44:45]
	v_fma_f64 v[16:17], v[62:63], s[0:1], v[36:37]
	;; [unrolled: 1-line block ×3, first 2 shown]
	v_add_f64_e32 v[10:11], v[24:25], v[50:51]
	v_fma_f64 v[32:33], v[115:116], s[0:1], v[58:59]
	v_fma_f64 v[34:35], v[65:66], s[0:1], v[77:78]
	;; [unrolled: 1-line block ×14, first 2 shown]
	s_wait_loadcnt 0x1
	v_mad_co_u64_u32 v[107:108], null, s4, v110, 0
	s_delay_alu instid0(VALU_DEP_1)
	v_mov_b32_e32 v61, v108
	s_wait_loadcnt 0x0
	v_mov_b32_e32 v109, v0
	v_add_f64_e32 v[0:1], v[8:9], v[12:13]
	v_add_f64_e32 v[8:9], v[22:23], v[48:49]
	v_fma_f64 v[22:23], v[54:55], s[0:1], v[46:47]
	v_fma_f64 v[12:13], v[62:63], s[0:1], v[26:27]
	v_mad_co_u64_u32 v[105:106], null, s6, v109, 0
	v_fma_f64 v[46:47], v[99:100], s[0:1], v[89:90]
	v_fma_f64 v[26:27], v[54:55], s[0:1], v[52:53]
	;; [unrolled: 1-line block ×5, first 2 shown]
	s_mul_u64 s[0:1], s[4:5], 0x87
	v_mov_b32_e32 v60, v106
	s_wait_alu 0xfffe
	s_lshl_b64 s[2:3], s[0:1], 4
	ds_store_b128 v64, v[0:3]
	ds_store_b128 v64, v[4:7] offset:1872
	ds_store_b128 v64, v[20:23] offset:11232
	;; [unrolled: 1-line block ×14, first 2 shown]
	v_mad_co_u64_u32 v[62:63], null, s7, v109, v[60:61]
	global_wb scope:SCOPE_SE
	s_wait_dscnt 0x0
	s_barrier_signal -1
	s_barrier_wait -1
	global_inv scope:SCOPE_SE
	ds_load_b128 v[0:3], v64
	ds_load_b128 v[4:7], v64 offset:2160
	ds_load_b128 v[8:11], v64 offset:4320
	;; [unrolled: 1-line block ×6, first 2 shown]
	v_mov_b32_e32 v106, v62
	v_mad_co_u64_u32 v[60:61], null, s5, v110, v[61:62]
	s_mov_b32 s6, 0x68012abd
	s_mov_b32 s7, 0x3f42abd5
	s_delay_alu instid0(VALU_DEP_1) | instskip(SKIP_1) | instid1(VALU_DEP_2)
	v_mov_b32_e32 v108, v60
	v_lshlrev_b64_e32 v[60:61], 4, v[105:106]
	v_lshlrev_b64_e32 v[62:63], 4, v[107:108]
	s_delay_alu instid0(VALU_DEP_2) | instskip(SKIP_1) | instid1(VALU_DEP_3)
	v_add_co_u32 v28, s0, s10, v60
	s_wait_alu 0xf1ff
	v_add_co_ci_u32_e64 v29, s0, s11, v61, s0
	s_delay_alu instid0(VALU_DEP_2) | instskip(SKIP_1) | instid1(VALU_DEP_2)
	v_add_co_u32 v54, s0, v28, v62
	s_wait_alu 0xf1ff
	v_add_co_ci_u32_e64 v55, s0, v29, v63, s0
	ds_load_b128 v[28:31], v64 offset:15120
	ds_load_b128 v[32:35], v64 offset:17280
	;; [unrolled: 1-line block ×6, first 2 shown]
	s_clause 0x1
	scratch_load_b128 v[113:116], off, off offset:184 th:TH_LOAD_LU
	scratch_load_b128 v[137:140], off, off offset:372 th:TH_LOAD_LU
	s_wait_alu 0xfffe
	v_add_co_u32 v107, s0, v54, s2
	s_wait_alu 0xf1ff
	v_add_co_ci_u32_e64 v108, s0, s3, v55, s0
	s_delay_alu instid0(VALU_DEP_2) | instskip(SKIP_1) | instid1(VALU_DEP_2)
	v_add_co_u32 v109, s0, v107, s2
	s_wait_alu 0xf1ff
	v_add_co_ci_u32_e64 v110, s0, s3, v108, s0
	s_delay_alu instid0(VALU_DEP_2) | instskip(SKIP_1) | instid1(VALU_DEP_2)
	v_add_co_u32 v111, s0, v109, s2
	s_wait_alu 0xf1ff
	v_add_co_ci_u32_e64 v112, s0, s3, v110, s0
	s_wait_loadcnt_dscnt 0x10c
	v_mul_f64_e32 v[52:53], v[115:116], v[2:3]
	v_mul_f64_e32 v[56:57], v[115:116], v[0:1]
	scratch_load_b128 v[115:118], off, off offset:200 th:TH_LOAD_LU ; 16-byte Folded Reload
	s_wait_loadcnt_dscnt 0x102
	v_mul_f64_e32 v[95:96], v[139:140], v[42:43]
	v_mul_f64_e32 v[97:98], v[139:140], v[40:41]
	scratch_load_b128 v[139:142], off, off offset:388 th:TH_LOAD_LU ; 16-byte Folded Reload
	v_fma_f64 v[0:1], v[113:114], v[0:1], v[52:53]
	v_fma_f64 v[52:53], v[113:114], v[2:3], -v[56:57]
	s_delay_alu instid0(VALU_DEP_2)
	v_mul_f64_e32 v[2:3], s[6:7], v[0:1]
	s_wait_loadcnt 0x1
	v_mul_f64_e32 v[58:59], v[117:118], v[6:7]
	v_mul_f64_e32 v[60:61], v[117:118], v[4:5]
	scratch_load_b128 v[117:120], off, off offset:216 th:TH_LOAD_LU ; 16-byte Folded Reload
	s_wait_loadcnt_dscnt 0x100
	v_mul_f64_e32 v[103:104], v[141:142], v[50:51]
	v_mul_f64_e32 v[105:106], v[141:142], v[48:49]
	v_fma_f64 v[56:57], v[115:116], v[4:5], v[58:59]
	v_fma_f64 v[58:59], v[115:116], v[6:7], -v[60:61]
	v_mul_f64_e32 v[4:5], s[6:7], v[52:53]
	s_delay_alu instid0(VALU_DEP_3)
	v_mul_f64_e32 v[6:7], s[6:7], v[56:57]
	s_wait_loadcnt 0x0
	v_mul_f64_e32 v[62:63], v[119:120], v[10:11]
	v_mul_f64_e32 v[65:66], v[119:120], v[8:9]
	scratch_load_b128 v[119:122], off, off offset:232 th:TH_LOAD_LU ; 16-byte Folded Reload
	v_fma_f64 v[60:61], v[117:118], v[8:9], v[62:63]
	v_fma_f64 v[62:63], v[117:118], v[10:11], -v[65:66]
	v_mul_f64_e32 v[8:9], s[6:7], v[58:59]
	s_delay_alu instid0(VALU_DEP_3)
	v_mul_f64_e32 v[10:11], s[6:7], v[60:61]
	s_wait_loadcnt 0x0
	v_mul_f64_e32 v[67:68], v[121:122], v[14:15]
	v_mul_f64_e32 v[69:70], v[121:122], v[12:13]
	scratch_load_b128 v[121:124], off, off offset:248 th:TH_LOAD_LU ; 16-byte Folded Reload
	;; [unrolled: 9-line block ×8, first 2 shown]
	v_fma_f64 v[89:90], v[131:132], v[36:37], v[91:92]
	v_fma_f64 v[91:92], v[131:132], v[38:39], -v[93:94]
	v_fma_f64 v[93:94], v[137:138], v[40:41], v[95:96]
	v_fma_f64 v[95:96], v[137:138], v[42:43], -v[97:98]
	v_mul_f64_e32 v[36:37], s[6:7], v[87:88]
	v_mul_f64_e32 v[38:39], s[6:7], v[89:90]
	;; [unrolled: 1-line block ×4, first 2 shown]
	s_wait_loadcnt 0x0
	v_mul_f64_e32 v[99:100], v[135:136], v[46:47]
	v_mul_f64_e32 v[101:102], v[135:136], v[44:45]
	s_delay_alu instid0(VALU_DEP_2) | instskip(NEXT) | instid1(VALU_DEP_2)
	v_fma_f64 v[97:98], v[133:134], v[44:45], v[99:100]
	v_fma_f64 v[99:100], v[133:134], v[46:47], -v[101:102]
	v_fma_f64 v[101:102], v[139:140], v[48:49], v[103:104]
	v_fma_f64 v[103:104], v[139:140], v[50:51], -v[105:106]
	v_add_co_u32 v105, s0, v111, s2
	s_wait_alu 0xf1ff
	v_add_co_ci_u32_e64 v106, s0, s3, v112, s0
	v_mul_f64_e32 v[44:45], s[6:7], v[95:96]
	s_delay_alu instid0(VALU_DEP_3) | instskip(SKIP_1) | instid1(VALU_DEP_3)
	v_add_co_u32 v113, s0, v105, s2
	s_wait_alu 0xf1ff
	v_add_co_ci_u32_e64 v114, s0, s3, v106, s0
	s_delay_alu instid0(VALU_DEP_2) | instskip(SKIP_1) | instid1(VALU_DEP_2)
	v_add_co_u32 v115, s0, v113, s2
	s_wait_alu 0xf1ff
	v_add_co_ci_u32_e64 v116, s0, s3, v114, s0
	s_delay_alu instid0(VALU_DEP_2) | instskip(SKIP_1) | instid1(VALU_DEP_2)
	;; [unrolled: 4-line block ×5, first 2 shown]
	v_add_co_u32 v62, s0, v60, s2
	s_wait_alu 0xf1ff
	v_add_co_ci_u32_e64 v63, s0, s3, v61, s0
	v_mul_f64_e32 v[46:47], s[6:7], v[97:98]
	v_mul_f64_e32 v[48:49], s[6:7], v[99:100]
	v_mul_f64_e32 v[50:51], s[6:7], v[101:102]
	v_mul_f64_e32 v[52:53], s[6:7], v[103:104]
	v_add_co_u32 v65, s0, v62, s2
	s_wait_alu 0xf1ff
	v_add_co_ci_u32_e64 v66, s0, s3, v63, s0
	s_delay_alu instid0(VALU_DEP_2) | instskip(SKIP_1) | instid1(VALU_DEP_2)
	v_add_co_u32 v0, s0, v65, s2
	s_wait_alu 0xf1ff
	v_add_co_ci_u32_e64 v1, s0, s3, v66, s0
	s_clause 0x4
	global_store_b128 v[54:55], v[2:5], off
	global_store_b128 v[107:108], v[6:9], off
	;; [unrolled: 1-line block ×13, first 2 shown]
	s_and_b32 exec_lo, exec_lo, vcc_lo
	s_cbranch_execz .LBB0_15
; %bb.14:
	scratch_load_b64 v[16:17], off, off th:TH_LOAD_LU ; 8-byte Folded Reload
	s_mul_i32 s0, s5, 0xffffa210
	s_wait_alu 0xfffe
	s_sub_co_i32 s0, s0, s4
	s_wait_loadcnt 0x0
	global_load_b128 v[2:5], v[16:17], off offset:1872
	ds_load_b128 v[6:9], v64 offset:1872
	ds_load_b128 v[10:13], v64 offset:4032
	s_wait_loadcnt_dscnt 0x1
	v_mul_f64_e32 v[14:15], v[8:9], v[4:5]
	v_mul_f64_e32 v[4:5], v[6:7], v[4:5]
	s_delay_alu instid0(VALU_DEP_2) | instskip(NEXT) | instid1(VALU_DEP_2)
	v_fma_f64 v[6:7], v[6:7], v[2:3], v[14:15]
	v_fma_f64 v[4:5], v[2:3], v[8:9], -v[4:5]
	s_delay_alu instid0(VALU_DEP_2) | instskip(NEXT) | instid1(VALU_DEP_2)
	v_mul_f64_e32 v[2:3], s[6:7], v[6:7]
	v_mul_f64_e32 v[4:5], s[6:7], v[4:5]
	v_mad_co_u64_u32 v[6:7], null, 0xffffa210, s4, v[0:1]
	s_wait_alu 0xfffe
	s_delay_alu instid0(VALU_DEP_1)
	v_add_nc_u32_e32 v7, s0, v7
	global_store_b128 v[6:7], v[2:5], off
	global_load_b128 v[0:3], v[16:17], off offset:4032
	s_wait_loadcnt_dscnt 0x0
	v_mul_f64_e32 v[4:5], v[12:13], v[2:3]
	v_mul_f64_e32 v[2:3], v[10:11], v[2:3]
	s_delay_alu instid0(VALU_DEP_2) | instskip(NEXT) | instid1(VALU_DEP_2)
	v_fma_f64 v[4:5], v[10:11], v[0:1], v[4:5]
	v_fma_f64 v[2:3], v[0:1], v[12:13], -v[2:3]
	v_add_co_u32 v12, vcc_lo, v6, s2
	s_wait_alu 0xfffd
	v_add_co_ci_u32_e32 v13, vcc_lo, s3, v7, vcc_lo
	s_delay_alu instid0(VALU_DEP_4) | instskip(NEXT) | instid1(VALU_DEP_4)
	v_mul_f64_e32 v[0:1], s[6:7], v[4:5]
	v_mul_f64_e32 v[2:3], s[6:7], v[2:3]
	global_store_b128 v[12:13], v[0:3], off
	global_load_b128 v[0:3], v[16:17], off offset:6192
	ds_load_b128 v[4:7], v64 offset:6192
	ds_load_b128 v[8:11], v64 offset:8352
	s_wait_loadcnt_dscnt 0x1
	v_mul_f64_e32 v[14:15], v[6:7], v[2:3]
	v_mul_f64_e32 v[2:3], v[4:5], v[2:3]
	s_delay_alu instid0(VALU_DEP_2) | instskip(NEXT) | instid1(VALU_DEP_2)
	v_fma_f64 v[4:5], v[4:5], v[0:1], v[14:15]
	v_fma_f64 v[2:3], v[0:1], v[6:7], -v[2:3]
	s_delay_alu instid0(VALU_DEP_2) | instskip(NEXT) | instid1(VALU_DEP_2)
	v_mul_f64_e32 v[0:1], s[6:7], v[4:5]
	v_mul_f64_e32 v[2:3], s[6:7], v[2:3]
	v_add_co_u32 v4, vcc_lo, v12, s2
	s_wait_alu 0xfffd
	v_add_co_ci_u32_e32 v5, vcc_lo, s3, v13, vcc_lo
	s_delay_alu instid0(VALU_DEP_2) | instskip(SKIP_1) | instid1(VALU_DEP_2)
	v_add_co_u32 v12, vcc_lo, v4, s2
	s_wait_alu 0xfffd
	v_add_co_ci_u32_e32 v13, vcc_lo, s3, v5, vcc_lo
	global_store_b128 v[4:5], v[0:3], off
	global_load_b128 v[0:3], v[16:17], off offset:8352
	s_wait_loadcnt_dscnt 0x0
	v_mul_f64_e32 v[6:7], v[10:11], v[2:3]
	v_mul_f64_e32 v[2:3], v[8:9], v[2:3]
	s_delay_alu instid0(VALU_DEP_2) | instskip(NEXT) | instid1(VALU_DEP_2)
	v_fma_f64 v[6:7], v[8:9], v[0:1], v[6:7]
	v_fma_f64 v[2:3], v[0:1], v[10:11], -v[2:3]
	s_delay_alu instid0(VALU_DEP_2) | instskip(NEXT) | instid1(VALU_DEP_2)
	v_mul_f64_e32 v[0:1], s[6:7], v[6:7]
	v_mul_f64_e32 v[2:3], s[6:7], v[2:3]
	global_store_b128 v[12:13], v[0:3], off
	global_load_b128 v[0:3], v[16:17], off offset:10512
	ds_load_b128 v[4:7], v64 offset:10512
	ds_load_b128 v[8:11], v64 offset:12672
	s_wait_loadcnt_dscnt 0x1
	v_mul_f64_e32 v[14:15], v[6:7], v[2:3]
	v_mul_f64_e32 v[2:3], v[4:5], v[2:3]
	s_delay_alu instid0(VALU_DEP_2) | instskip(NEXT) | instid1(VALU_DEP_2)
	v_fma_f64 v[4:5], v[4:5], v[0:1], v[14:15]
	v_fma_f64 v[2:3], v[0:1], v[6:7], -v[2:3]
	s_delay_alu instid0(VALU_DEP_2) | instskip(NEXT) | instid1(VALU_DEP_2)
	v_mul_f64_e32 v[0:1], s[6:7], v[4:5]
	v_mul_f64_e32 v[2:3], s[6:7], v[2:3]
	v_add_co_u32 v4, vcc_lo, v12, s2
	s_wait_alu 0xfffd
	v_add_co_ci_u32_e32 v5, vcc_lo, s3, v13, vcc_lo
	s_delay_alu instid0(VALU_DEP_2) | instskip(SKIP_1) | instid1(VALU_DEP_2)
	v_add_co_u32 v12, vcc_lo, v4, s2
	s_wait_alu 0xfffd
	v_add_co_ci_u32_e32 v13, vcc_lo, s3, v5, vcc_lo
	global_store_b128 v[4:5], v[0:3], off
	global_load_b128 v[0:3], v[16:17], off offset:12672
	s_wait_loadcnt_dscnt 0x0
	v_mul_f64_e32 v[6:7], v[10:11], v[2:3]
	v_mul_f64_e32 v[2:3], v[8:9], v[2:3]
	s_delay_alu instid0(VALU_DEP_2) | instskip(NEXT) | instid1(VALU_DEP_2)
	v_fma_f64 v[6:7], v[8:9], v[0:1], v[6:7]
	v_fma_f64 v[2:3], v[0:1], v[10:11], -v[2:3]
	s_delay_alu instid0(VALU_DEP_2) | instskip(NEXT) | instid1(VALU_DEP_2)
	v_mul_f64_e32 v[0:1], s[6:7], v[6:7]
	v_mul_f64_e32 v[2:3], s[6:7], v[2:3]
	global_store_b128 v[12:13], v[0:3], off
	global_load_b128 v[0:3], v[16:17], off offset:14832
	ds_load_b128 v[4:7], v64 offset:14832
	ds_load_b128 v[8:11], v64 offset:16992
	s_wait_loadcnt_dscnt 0x1
	v_mul_f64_e32 v[14:15], v[6:7], v[2:3]
	v_mul_f64_e32 v[2:3], v[4:5], v[2:3]
	s_delay_alu instid0(VALU_DEP_2) | instskip(NEXT) | instid1(VALU_DEP_2)
	v_fma_f64 v[4:5], v[4:5], v[0:1], v[14:15]
	v_fma_f64 v[2:3], v[0:1], v[6:7], -v[2:3]
	s_delay_alu instid0(VALU_DEP_2) | instskip(NEXT) | instid1(VALU_DEP_2)
	v_mul_f64_e32 v[0:1], s[6:7], v[4:5]
	v_mul_f64_e32 v[2:3], s[6:7], v[2:3]
	v_add_co_u32 v4, vcc_lo, v12, s2
	s_wait_alu 0xfffd
	v_add_co_ci_u32_e32 v5, vcc_lo, s3, v13, vcc_lo
	s_delay_alu instid0(VALU_DEP_2) | instskip(SKIP_1) | instid1(VALU_DEP_2)
	v_add_co_u32 v12, vcc_lo, v4, s2
	s_wait_alu 0xfffd
	v_add_co_ci_u32_e32 v13, vcc_lo, s3, v5, vcc_lo
	global_store_b128 v[4:5], v[0:3], off
	global_load_b128 v[0:3], v[16:17], off offset:16992
	s_wait_loadcnt_dscnt 0x0
	v_mul_f64_e32 v[6:7], v[10:11], v[2:3]
	v_mul_f64_e32 v[2:3], v[8:9], v[2:3]
	s_delay_alu instid0(VALU_DEP_2) | instskip(NEXT) | instid1(VALU_DEP_2)
	v_fma_f64 v[6:7], v[8:9], v[0:1], v[6:7]
	v_fma_f64 v[2:3], v[0:1], v[10:11], -v[2:3]
	s_delay_alu instid0(VALU_DEP_2) | instskip(NEXT) | instid1(VALU_DEP_2)
	v_mul_f64_e32 v[0:1], s[6:7], v[6:7]
	v_mul_f64_e32 v[2:3], s[6:7], v[2:3]
	global_store_b128 v[12:13], v[0:3], off
	global_load_b128 v[0:3], v[16:17], off offset:19152
	ds_load_b128 v[4:7], v64 offset:19152
	ds_load_b128 v[8:11], v64 offset:21312
	s_wait_loadcnt_dscnt 0x1
	v_mul_f64_e32 v[14:15], v[6:7], v[2:3]
	v_mul_f64_e32 v[2:3], v[4:5], v[2:3]
	s_delay_alu instid0(VALU_DEP_2) | instskip(NEXT) | instid1(VALU_DEP_2)
	v_fma_f64 v[4:5], v[4:5], v[0:1], v[14:15]
	v_fma_f64 v[2:3], v[0:1], v[6:7], -v[2:3]
	s_delay_alu instid0(VALU_DEP_2) | instskip(NEXT) | instid1(VALU_DEP_2)
	v_mul_f64_e32 v[0:1], s[6:7], v[4:5]
	v_mul_f64_e32 v[2:3], s[6:7], v[2:3]
	v_add_co_u32 v4, vcc_lo, v12, s2
	s_wait_alu 0xfffd
	v_add_co_ci_u32_e32 v5, vcc_lo, s3, v13, vcc_lo
	s_delay_alu instid0(VALU_DEP_2) | instskip(SKIP_1) | instid1(VALU_DEP_2)
	v_add_co_u32 v12, vcc_lo, v4, s2
	s_wait_alu 0xfffd
	v_add_co_ci_u32_e32 v13, vcc_lo, s3, v5, vcc_lo
	global_store_b128 v[4:5], v[0:3], off
	global_load_b128 v[0:3], v[16:17], off offset:21312
	s_wait_loadcnt_dscnt 0x0
	v_mul_f64_e32 v[6:7], v[10:11], v[2:3]
	v_mul_f64_e32 v[2:3], v[8:9], v[2:3]
	s_delay_alu instid0(VALU_DEP_2) | instskip(NEXT) | instid1(VALU_DEP_2)
	v_fma_f64 v[6:7], v[8:9], v[0:1], v[6:7]
	v_fma_f64 v[2:3], v[0:1], v[10:11], -v[2:3]
	s_delay_alu instid0(VALU_DEP_2) | instskip(NEXT) | instid1(VALU_DEP_2)
	v_mul_f64_e32 v[0:1], s[6:7], v[6:7]
	v_mul_f64_e32 v[2:3], s[6:7], v[2:3]
	global_store_b128 v[12:13], v[0:3], off
	global_load_b128 v[0:3], v[16:17], off offset:23472
	ds_load_b128 v[4:7], v64 offset:23472
	ds_load_b128 v[8:11], v64 offset:25632
	s_wait_loadcnt_dscnt 0x1
	v_mul_f64_e32 v[14:15], v[6:7], v[2:3]
	v_mul_f64_e32 v[2:3], v[4:5], v[2:3]
	s_delay_alu instid0(VALU_DEP_2) | instskip(NEXT) | instid1(VALU_DEP_2)
	v_fma_f64 v[4:5], v[4:5], v[0:1], v[14:15]
	v_fma_f64 v[2:3], v[0:1], v[6:7], -v[2:3]
	s_delay_alu instid0(VALU_DEP_2) | instskip(NEXT) | instid1(VALU_DEP_2)
	v_mul_f64_e32 v[0:1], s[6:7], v[4:5]
	v_mul_f64_e32 v[2:3], s[6:7], v[2:3]
	v_add_co_u32 v4, vcc_lo, v12, s2
	s_wait_alu 0xfffd
	v_add_co_ci_u32_e32 v5, vcc_lo, s3, v13, vcc_lo
	global_store_b128 v[4:5], v[0:3], off
	global_load_b128 v[0:3], v[16:17], off offset:25632
	s_wait_loadcnt_dscnt 0x0
	v_mul_f64_e32 v[6:7], v[10:11], v[2:3]
	v_mul_f64_e32 v[2:3], v[8:9], v[2:3]
	s_delay_alu instid0(VALU_DEP_2) | instskip(NEXT) | instid1(VALU_DEP_2)
	v_fma_f64 v[6:7], v[8:9], v[0:1], v[6:7]
	v_fma_f64 v[2:3], v[0:1], v[10:11], -v[2:3]
	v_add_co_u32 v8, vcc_lo, v4, s2
	s_wait_alu 0xfffd
	v_add_co_ci_u32_e32 v9, vcc_lo, s3, v5, vcc_lo
	s_delay_alu instid0(VALU_DEP_4) | instskip(NEXT) | instid1(VALU_DEP_4)
	v_mul_f64_e32 v[0:1], s[6:7], v[6:7]
	v_mul_f64_e32 v[2:3], s[6:7], v[2:3]
	ds_load_b128 v[4:7], v64 offset:27792
	global_store_b128 v[8:9], v[0:3], off
	global_load_b128 v[0:3], v[16:17], off offset:27792
	s_wait_loadcnt_dscnt 0x0
	v_mul_f64_e32 v[10:11], v[6:7], v[2:3]
	v_mul_f64_e32 v[2:3], v[4:5], v[2:3]
	s_delay_alu instid0(VALU_DEP_2) | instskip(NEXT) | instid1(VALU_DEP_2)
	v_fma_f64 v[4:5], v[4:5], v[0:1], v[10:11]
	v_fma_f64 v[2:3], v[0:1], v[6:7], -v[2:3]
	s_delay_alu instid0(VALU_DEP_2) | instskip(NEXT) | instid1(VALU_DEP_2)
	v_mul_f64_e32 v[0:1], s[6:7], v[4:5]
	v_mul_f64_e32 v[2:3], s[6:7], v[2:3]
	v_add_co_u32 v4, vcc_lo, v8, s2
	s_wait_alu 0xfffd
	v_add_co_ci_u32_e32 v5, vcc_lo, s3, v9, vcc_lo
	global_store_b128 v[4:5], v[0:3], off
.LBB0_15:
	s_nop 0
	s_sendmsg sendmsg(MSG_DEALLOC_VGPRS)
	s_endpgm
	.section	.rodata,"a",@progbits
	.p2align	6, 0x0
	.amdhsa_kernel bluestein_single_back_len1755_dim1_dp_op_CI_CI
		.amdhsa_group_segment_fixed_size 28080
		.amdhsa_private_segment_fixed_size 816
		.amdhsa_kernarg_size 104
		.amdhsa_user_sgpr_count 2
		.amdhsa_user_sgpr_dispatch_ptr 0
		.amdhsa_user_sgpr_queue_ptr 0
		.amdhsa_user_sgpr_kernarg_segment_ptr 1
		.amdhsa_user_sgpr_dispatch_id 0
		.amdhsa_user_sgpr_private_segment_size 0
		.amdhsa_wavefront_size32 1
		.amdhsa_uses_dynamic_stack 0
		.amdhsa_enable_private_segment 1
		.amdhsa_system_sgpr_workgroup_id_x 1
		.amdhsa_system_sgpr_workgroup_id_y 0
		.amdhsa_system_sgpr_workgroup_id_z 0
		.amdhsa_system_sgpr_workgroup_info 0
		.amdhsa_system_vgpr_workitem_id 0
		.amdhsa_next_free_vgpr 256
		.amdhsa_next_free_sgpr 48
		.amdhsa_reserve_vcc 1
		.amdhsa_float_round_mode_32 0
		.amdhsa_float_round_mode_16_64 0
		.amdhsa_float_denorm_mode_32 3
		.amdhsa_float_denorm_mode_16_64 3
		.amdhsa_fp16_overflow 0
		.amdhsa_workgroup_processor_mode 1
		.amdhsa_memory_ordered 1
		.amdhsa_forward_progress 0
		.amdhsa_round_robin_scheduling 0
		.amdhsa_exception_fp_ieee_invalid_op 0
		.amdhsa_exception_fp_denorm_src 0
		.amdhsa_exception_fp_ieee_div_zero 0
		.amdhsa_exception_fp_ieee_overflow 0
		.amdhsa_exception_fp_ieee_underflow 0
		.amdhsa_exception_fp_ieee_inexact 0
		.amdhsa_exception_int_div_zero 0
	.end_amdhsa_kernel
	.text
.Lfunc_end0:
	.size	bluestein_single_back_len1755_dim1_dp_op_CI_CI, .Lfunc_end0-bluestein_single_back_len1755_dim1_dp_op_CI_CI
                                        ; -- End function
	.section	.AMDGPU.csdata,"",@progbits
; Kernel info:
; codeLenInByte = 32928
; NumSgprs: 50
; NumVgprs: 256
; ScratchSize: 816
; MemoryBound: 0
; FloatMode: 240
; IeeeMode: 1
; LDSByteSize: 28080 bytes/workgroup (compile time only)
; SGPRBlocks: 6
; VGPRBlocks: 31
; NumSGPRsForWavesPerEU: 50
; NumVGPRsForWavesPerEU: 256
; Occupancy: 4
; WaveLimiterHint : 1
; COMPUTE_PGM_RSRC2:SCRATCH_EN: 1
; COMPUTE_PGM_RSRC2:USER_SGPR: 2
; COMPUTE_PGM_RSRC2:TRAP_HANDLER: 0
; COMPUTE_PGM_RSRC2:TGID_X_EN: 1
; COMPUTE_PGM_RSRC2:TGID_Y_EN: 0
; COMPUTE_PGM_RSRC2:TGID_Z_EN: 0
; COMPUTE_PGM_RSRC2:TIDIG_COMP_CNT: 0
	.text
	.p2alignl 7, 3214868480
	.fill 96, 4, 3214868480
	.type	__hip_cuid_d3c09738d1b7ada6,@object ; @__hip_cuid_d3c09738d1b7ada6
	.section	.bss,"aw",@nobits
	.globl	__hip_cuid_d3c09738d1b7ada6
__hip_cuid_d3c09738d1b7ada6:
	.byte	0                               ; 0x0
	.size	__hip_cuid_d3c09738d1b7ada6, 1

	.ident	"AMD clang version 19.0.0git (https://github.com/RadeonOpenCompute/llvm-project roc-6.4.0 25133 c7fe45cf4b819c5991fe208aaa96edf142730f1d)"
	.section	".note.GNU-stack","",@progbits
	.addrsig
	.addrsig_sym __hip_cuid_d3c09738d1b7ada6
	.amdgpu_metadata
---
amdhsa.kernels:
  - .args:
      - .actual_access:  read_only
        .address_space:  global
        .offset:         0
        .size:           8
        .value_kind:     global_buffer
      - .actual_access:  read_only
        .address_space:  global
        .offset:         8
        .size:           8
        .value_kind:     global_buffer
      - .actual_access:  read_only
        .address_space:  global
        .offset:         16
        .size:           8
        .value_kind:     global_buffer
      - .actual_access:  read_only
        .address_space:  global
        .offset:         24
        .size:           8
        .value_kind:     global_buffer
      - .actual_access:  read_only
        .address_space:  global
        .offset:         32
        .size:           8
        .value_kind:     global_buffer
      - .offset:         40
        .size:           8
        .value_kind:     by_value
      - .address_space:  global
        .offset:         48
        .size:           8
        .value_kind:     global_buffer
      - .address_space:  global
        .offset:         56
        .size:           8
        .value_kind:     global_buffer
      - .address_space:  global
        .offset:         64
        .size:           8
        .value_kind:     global_buffer
      - .address_space:  global
        .offset:         72
        .size:           8
        .value_kind:     global_buffer
      - .offset:         80
        .size:           4
        .value_kind:     by_value
      - .address_space:  global
        .offset:         88
        .size:           8
        .value_kind:     global_buffer
      - .address_space:  global
        .offset:         96
        .size:           8
        .value_kind:     global_buffer
    .group_segment_fixed_size: 28080
    .kernarg_segment_align: 8
    .kernarg_segment_size: 104
    .language:       OpenCL C
    .language_version:
      - 2
      - 0
    .max_flat_workgroup_size: 117
    .name:           bluestein_single_back_len1755_dim1_dp_op_CI_CI
    .private_segment_fixed_size: 816
    .sgpr_count:     50
    .sgpr_spill_count: 0
    .symbol:         bluestein_single_back_len1755_dim1_dp_op_CI_CI.kd
    .uniform_work_group_size: 1
    .uses_dynamic_stack: false
    .vgpr_count:     256
    .vgpr_spill_count: 247
    .wavefront_size: 32
    .workgroup_processor_mode: 1
amdhsa.target:   amdgcn-amd-amdhsa--gfx1201
amdhsa.version:
  - 1
  - 2
...

	.end_amdgpu_metadata
